;; amdgpu-corpus repo=ROCm/rocFFT kind=compiled arch=gfx950 opt=O3
	.text
	.amdgcn_target "amdgcn-amd-amdhsa--gfx950"
	.amdhsa_code_object_version 6
	.protected	bluestein_single_back_len3888_dim1_dp_op_CI_CI ; -- Begin function bluestein_single_back_len3888_dim1_dp_op_CI_CI
	.globl	bluestein_single_back_len3888_dim1_dp_op_CI_CI
	.p2align	8
	.type	bluestein_single_back_len3888_dim1_dp_op_CI_CI,@function
bluestein_single_back_len3888_dim1_dp_op_CI_CI: ; @bluestein_single_back_len3888_dim1_dp_op_CI_CI
; %bb.0:
	s_load_dwordx4 s[8:11], s[0:1], 0x28
	v_mul_u32_u24_e32 v1, 0x195, v0
	v_lshrrev_b32_e32 v1, 17, v1
	v_mov_b32_e32 v227, 0
	v_add_u32_e32 v246, s2, v1
	v_mov_b32_e32 v247, v227
	s_waitcnt lgkmcnt(0)
	v_cmp_gt_u64_e32 vcc, s[8:9], v[246:247]
	s_and_saveexec_b64 s[2:3], vcc
	s_cbranch_execz .LBB0_15
; %bb.1:
	s_load_dwordx2 s[12:13], s[0:1], 0x0
	s_load_dwordx2 s[8:9], s[0:1], 0x38
	v_mul_lo_u16_e32 v1, 0x144, v1
	v_sub_u16_e32 v226, v0, v1
	s_movk_i32 s2, 0xf3
	v_cmp_gt_u16_e64 s[2:3], s2, v226
	v_lshlrev_b32_e32 v224, 4, v226
	s_and_saveexec_b64 s[14:15], s[2:3]
	s_cbranch_execz .LBB0_3
; %bb.2:
	s_load_dwordx2 s[4:5], s[0:1], 0x18
	v_mov_b32_e32 v0, s10
	v_mov_b32_e32 v1, s11
	;; [unrolled: 1-line block ×4, first 2 shown]
	s_waitcnt lgkmcnt(0)
	s_load_dwordx4 s[4:7], s[4:5], 0x0
	v_lshl_add_u64 v[76:77], s[12:13], 0, v[224:225]
	s_waitcnt lgkmcnt(0)
	v_mad_u64_u32 v[2:3], s[10:11], s6, v246, 0
	v_mad_u64_u32 v[4:5], s[10:11], s4, v226, 0
	v_mov_b32_e32 v6, v3
	v_mov_b32_e32 v8, v5
	v_mad_u64_u32 v[6:7], s[6:7], s7, v246, v[6:7]
	v_mov_b32_e32 v3, v6
	v_mad_u64_u32 v[6:7], s[6:7], s5, v226, v[8:9]
	v_mov_b32_e32 v5, v6
	v_lshl_add_u64 v[0:1], v[2:3], 4, v[0:1]
	v_lshl_add_u64 v[4:5], v[4:5], 4, v[0:1]
	v_mad_u64_u32 v[20:21], s[6:7], s4, v124, v[4:5]
	s_mulk_i32 s5, 0xf30
	v_add_u32_e32 v21, s5, v21
	v_mad_u64_u32 v[22:23], s[6:7], s4, v124, v[20:21]
	v_add_u32_e32 v23, s5, v23
	s_movk_i32 s6, 0x1000
	v_add_co_u32_e32 v28, vcc, s6, v76
	v_mad_u64_u32 v[36:37], s[6:7], s4, v124, v[22:23]
	s_nop 0
	v_addc_co_u32_e32 v29, vcc, 0, v77, vcc
	v_add_u32_e32 v37, s5, v37
	s_movk_i32 s6, 0x2000
	v_add_co_u32_e32 v30, vcc, s6, v76
	v_mad_u64_u32 v[38:39], s[6:7], s4, v124, v[36:37]
	s_nop 0
	v_addc_co_u32_e32 v31, vcc, 0, v77, vcc
	;; [unrolled: 6-line block ×3, first 2 shown]
	s_movk_i32 s6, 0x4000
	global_load_dwordx4 v[0:3], v[4:5], off
	v_add_co_u32_e32 v52, vcc, s6, v76
	global_load_dwordx4 v[4:7], v224, s[12:13]
	global_load_dwordx4 v[8:11], v224, s[12:13] offset:3888
	v_add_u32_e32 v51, s5, v51
	v_addc_co_u32_e32 v53, vcc, 0, v77, vcc
	global_load_dwordx4 v[16:19], v[20:21], off
	global_load_dwordx4 v[12:15], v[22:23], off
	global_load_dwordx4 v[24:27], v[28:29], off offset:3680
	s_nop 0
	global_load_dwordx4 v[20:23], v[30:31], off offset:3472
	global_load_dwordx4 v[32:35], v[36:37], off
	s_nop 0
	global_load_dwordx4 v[28:31], v[38:39], off
	s_waitcnt vmcnt(7)
	v_mul_f64 v[130:131], v[2:3], v[6:7]
	global_load_dwordx4 v[36:39], v[50:51], off
	global_load_dwordx4 v[44:47], v[48:49], off offset:3264
	global_load_dwordx4 v[40:43], v[52:53], off offset:3056
	v_mad_u64_u32 v[52:53], s[6:7], s4, v124, v[50:51]
	v_add_u32_e32 v53, s5, v53
	s_movk_i32 s6, 0x5000
	v_add_co_u32_e32 v64, vcc, s6, v76
	v_mad_u64_u32 v[66:67], s[6:7], s4, v124, v[52:53]
	s_nop 0
	v_addc_co_u32_e32 v65, vcc, 0, v77, vcc
	s_movk_i32 s6, 0x6000
	v_add_co_u32_e32 v68, vcc, s6, v76
	v_add_u32_e32 v67, s5, v67
	s_nop 0
	v_addc_co_u32_e32 v69, vcc, 0, v77, vcc
	global_load_dwordx4 v[48:51], v[52:53], off
	v_fmac_f64_e32 v[130:131], v[0:1], v[4:5]
	global_load_dwordx4 v[52:55], v[66:67], off
	global_load_dwordx4 v[60:63], v[64:65], off offset:2848
	global_load_dwordx4 v[56:59], v[68:69], off offset:2640
	v_mad_u64_u32 v[68:69], s[6:7], s4, v124, v[66:67]
	v_add_u32_e32 v69, s5, v69
	s_movk_i32 s6, 0x7000
	v_add_co_u32_e32 v82, vcc, s6, v76
	v_mad_u64_u32 v[84:85], s[6:7], s4, v124, v[68:69]
	s_nop 0
	v_addc_co_u32_e32 v83, vcc, 0, v77, vcc
	s_mov_b32 s6, 0x8000
	v_add_co_u32_e32 v86, vcc, s6, v76
	v_add_u32_e32 v85, s5, v85
	s_nop 0
	v_addc_co_u32_e32 v87, vcc, 0, v77, vcc
	global_load_dwordx4 v[64:67], v[68:69], off
	v_mul_f64 v[0:1], v[0:1], v[6:7]
	global_load_dwordx4 v[68:71], v[84:85], off
	global_load_dwordx4 v[78:81], v[82:83], off offset:2432
	global_load_dwordx4 v[72:75], v[86:87], off offset:2224
	v_mad_u64_u32 v[86:87], s[6:7], s4, v124, v[84:85]
	v_add_u32_e32 v87, s5, v87
	s_mov_b32 s6, 0x9000
	v_add_co_u32_e32 v98, vcc, s6, v76
	v_mad_u64_u32 v[100:101], s[6:7], s4, v124, v[86:87]
	s_nop 0
	v_addc_co_u32_e32 v99, vcc, 0, v77, vcc
	s_mov_b32 s6, 0xa000
	v_add_co_u32_e32 v102, vcc, s6, v76
	v_add_u32_e32 v101, s5, v101
	s_nop 0
	v_addc_co_u32_e32 v103, vcc, 0, v77, vcc
	global_load_dwordx4 v[82:85], v[86:87], off
	v_fma_f64 v[132:133], v[2:3], v[4:5], -v[0:1]
	global_load_dwordx4 v[86:89], v[100:101], off
	global_load_dwordx4 v[90:93], v[98:99], off offset:2016
	global_load_dwordx4 v[94:97], v[102:103], off offset:1808
	v_mad_u64_u32 v[102:103], s[6:7], s4, v124, v[100:101]
	v_add_u32_e32 v103, s5, v103
	s_mov_b32 s6, 0xb000
	v_add_co_u32_e32 v114, vcc, s6, v76
	v_mad_u64_u32 v[116:117], s[6:7], s4, v124, v[102:103]
	s_nop 0
	v_addc_co_u32_e32 v115, vcc, 0, v77, vcc
	v_add_u32_e32 v117, s5, v117
	s_mov_b32 s6, 0xc000
	global_load_dwordx4 v[98:101], v[102:103], off
	v_add_co_u32_e32 v118, vcc, s6, v76
	v_mad_u64_u32 v[122:123], s[6:7], s4, v124, v[116:117]
	global_load_dwordx4 v[102:105], v[116:117], off
	v_addc_co_u32_e32 v119, vcc, 0, v77, vcc
	global_load_dwordx4 v[106:109], v[114:115], off offset:1600
	global_load_dwordx4 v[110:113], v[118:119], off offset:1392
	s_mov_b32 s6, 0xd000
	v_add_u32_e32 v123, s5, v123
	v_add_co_u32_e32 v118, vcc, s6, v76
	global_load_dwordx4 v[114:117], v[122:123], off
	s_nop 0
	v_addc_co_u32_e32 v119, vcc, 0, v77, vcc
	v_mad_u64_u32 v[122:123], s[6:7], s4, v124, v[122:123]
	s_mov_b32 s4, 0xe000
	global_load_dwordx4 v[118:121], v[118:119], off offset:1184
	v_add_co_u32_e32 v76, vcc, s4, v76
	v_add_u32_e32 v123, s5, v123
	s_nop 0
	v_addc_co_u32_e32 v77, vcc, 0, v77, vcc
	global_load_dwordx4 v[126:129], v[76:77], off offset:976
	s_waitcnt vmcnt(27)
	v_mul_f64 v[0:1], v[18:19], v[10:11]
	global_load_dwordx4 v[122:125], v[122:123], off
	v_mul_f64 v[2:3], v[16:17], v[10:11]
	v_fmac_f64_e32 v[0:1], v[16:17], v[8:9]
	v_fma_f64 v[2:3], v[18:19], v[8:9], -v[2:3]
	ds_write_b128 v224, v[0:3] offset:3888
	s_waitcnt vmcnt(26)
	v_mul_f64 v[0:1], v[14:15], v[26:27]
	v_mul_f64 v[2:3], v[12:13], v[26:27]
	v_fmac_f64_e32 v[0:1], v[12:13], v[24:25]
	v_fma_f64 v[2:3], v[14:15], v[24:25], -v[2:3]
	ds_write_b128 v224, v[0:3] offset:7776
	s_waitcnt vmcnt(24)
	v_mul_f64 v[0:1], v[34:35], v[22:23]
	;; [unrolled: 6-line block ×10, first 2 shown]
	v_mul_f64 v[2:3], v[86:87], v[96:97]
	v_fmac_f64_e32 v[0:1], v[86:87], v[94:95]
	v_fma_f64 v[2:3], v[88:89], v[94:95], -v[2:3]
	ds_write_b128 v224, v[0:3] offset:42768
	ds_write_b128 v224, v[130:133]
	s_waitcnt vmcnt(5)
	v_mul_f64 v[0:1], v[100:101], v[108:109]
	v_mul_f64 v[2:3], v[98:99], v[108:109]
	v_fmac_f64_e32 v[0:1], v[98:99], v[106:107]
	v_fma_f64 v[2:3], v[100:101], v[106:107], -v[2:3]
	ds_write_b128 v224, v[0:3] offset:46656
	s_waitcnt vmcnt(4)
	v_mul_f64 v[0:1], v[104:105], v[112:113]
	v_mul_f64 v[2:3], v[102:103], v[112:113]
	v_fmac_f64_e32 v[0:1], v[102:103], v[110:111]
	v_fma_f64 v[2:3], v[104:105], v[110:111], -v[2:3]
	ds_write_b128 v224, v[0:3] offset:50544
	;; [unrolled: 6-line block ×4, first 2 shown]
.LBB0_3:
	s_or_b64 exec, exec, s[14:15]
	s_load_dwordx2 s[4:5], s[0:1], 0x20
	s_load_dwordx2 s[10:11], s[0:1], 0x8
	s_waitcnt lgkmcnt(0)
	s_barrier
	s_waitcnt lgkmcnt(0)
                                        ; implicit-def: $vgpr60_vgpr61
                                        ; implicit-def: $vgpr12_vgpr13
                                        ; implicit-def: $vgpr28_vgpr29
                                        ; implicit-def: $vgpr52_vgpr53
                                        ; implicit-def: $vgpr56_vgpr57
                                        ; implicit-def: $vgpr44_vgpr45
                                        ; implicit-def: $vgpr48_vgpr49
                                        ; implicit-def: $vgpr36_vgpr37
                                        ; implicit-def: $vgpr40_vgpr41
                                        ; implicit-def: $vgpr32_vgpr33
                                        ; implicit-def: $vgpr24_vgpr25
                                        ; implicit-def: $vgpr16_vgpr17
                                        ; implicit-def: $vgpr20_vgpr21
                                        ; implicit-def: $vgpr4_vgpr5
                                        ; implicit-def: $vgpr8_vgpr9
                                        ; implicit-def: $vgpr0_vgpr1
	s_and_saveexec_b64 s[0:1], s[2:3]
	s_cbranch_execz .LBB0_5
; %bb.4:
	ds_read_b128 v[0:3], v224 offset:3888
	ds_read_b128 v[8:11], v224 offset:7776
	;; [unrolled: 1-line block ×14, first 2 shown]
	ds_read_b128 v[60:63], v224
	ds_read_b128 v[52:55], v224 offset:58320
.LBB0_5:
	s_or_b64 exec, exec, s[0:1]
	s_waitcnt lgkmcnt(1)
	v_add_f64 v[32:33], v[60:61], -v[32:33]
	v_add_f64 v[34:35], v[62:63], -v[34:35]
	;; [unrolled: 1-line block ×8, first 2 shown]
	v_fma_f64 v[60:61], v[60:61], 2.0, -v[32:33]
	v_fma_f64 v[62:63], v[62:63], 2.0, -v[34:35]
	;; [unrolled: 1-line block ×8, first 2 shown]
	v_add_f64 v[68:69], v[0:1], -v[28:29]
	v_add_f64 v[70:71], v[2:3], -v[30:31]
	;; [unrolled: 1-line block ×5, first 2 shown]
	s_waitcnt lgkmcnt(0)
	v_add_f64 v[54:55], v[26:27], -v[54:55]
	v_add_f64 v[38:39], v[34:35], v[48:49]
	v_fma_f64 v[72:73], v[0:1], 2.0, -v[68:69]
	v_fma_f64 v[74:75], v[2:3], 2.0, -v[70:71]
	;; [unrolled: 1-line block ×4, first 2 shown]
	v_add_f64 v[36:37], v[4:5], -v[36:37]
	v_fma_f64 v[80:81], v[6:7], 2.0, -v[76:77]
	v_add_f64 v[52:53], v[24:25], -v[52:53]
	v_fma_f64 v[26:27], v[26:27], 2.0, -v[54:55]
	v_add_f64 v[14:15], v[60:61], -v[20:21]
	v_add_f64 v[20:21], v[62:63], -v[22:23]
	;; [unrolled: 1-line block ×3, first 2 shown]
	v_fma_f64 v[12:13], v[34:35], 2.0, -v[38:39]
	v_add_f64 v[34:35], v[8:9], -v[64:65]
	v_add_f64 v[48:49], v[10:11], -v[66:67]
	v_add_f64 v[64:65], v[56:57], v[42:43]
	v_add_f64 v[56:57], v[44:45], v[70:71]
	s_mov_b32 s6, 0x667f3bcd
	v_fma_f64 v[78:79], v[4:5], 2.0, -v[36:37]
	v_fma_f64 v[24:25], v[24:25], 2.0, -v[52:53]
	;; [unrolled: 1-line block ×6, first 2 shown]
	v_add_f64 v[62:63], v[40:41], -v[58:59]
	v_add_f64 v[30:31], v[72:73], -v[16:17]
	;; [unrolled: 1-line block ×4, first 2 shown]
	v_fma_f64 v[22:23], v[70:71], 2.0, -v[56:57]
	v_add_f64 v[70:71], v[80:81], -v[26:27]
	v_add_f64 v[54:55], v[36:37], -v[54:55]
	v_add_f64 v[52:53], v[52:53], v[76:77]
	s_mov_b32 s7, 0xbfe6a09e
	s_mov_b32 s15, 0x3fe6a09e
	;; [unrolled: 1-line block ×3, first 2 shown]
	v_fma_f64 v[50:51], v[8:9], 2.0, -v[34:35]
	v_fma_f64 v[40:41], v[40:41], 2.0, -v[62:63]
	;; [unrolled: 1-line block ×6, first 2 shown]
	v_add_f64 v[68:69], v[78:79], -v[24:25]
	v_fma_f64 v[44:45], v[80:81], 2.0, -v[70:71]
	v_fma_f64 v[72:73], v[36:37], 2.0, -v[54:55]
	;; [unrolled: 1-line block ×3, first 2 shown]
	v_add_f64 v[16:17], v[2:3], -v[60:61]
	v_fma_f64 v[60:61], s[14:15], v[62:63], v[28:29]
	v_fma_f64 v[66:67], s[14:15], v[64:65], v[38:39]
	v_fma_f64 v[24:25], v[78:79], 2.0, -v[68:69]
	v_add_f64 v[10:11], v[0:1], -v[50:51]
	v_fma_f64 v[26:27], s[6:7], v[40:41], v[6:7]
	v_fma_f64 v[36:37], s[6:7], v[42:43], v[12:13]
	v_add_f64 v[58:59], v[20:21], v[34:35]
	v_fmac_f64_e32 v[60:61], s[6:7], v[64:65]
	v_fmac_f64_e32 v[66:67], s[14:15], v[62:63]
	v_add_f64 v[34:35], v[8:9], -v[44:45]
	v_fma_f64 v[44:45], s[6:7], v[72:73], v[18:19]
	v_fma_f64 v[50:51], s[6:7], v[74:75], v[22:23]
	v_add_f64 v[62:63], v[30:31], -v[70:71]
	v_add_f64 v[64:65], v[68:69], v[32:33]
	v_fma_f64 v[68:69], s[14:15], v[54:55], v[46:47]
	v_fma_f64 v[70:71], s[14:15], v[52:53], v[56:57]
	s_mov_b32 s16, 0xa6aea964
	s_mov_b32 s18, 0xcf328d46
	v_fmac_f64_e32 v[26:27], s[6:7], v[42:43]
	v_fmac_f64_e32 v[36:37], s[14:15], v[40:41]
	v_add_f64 v[48:49], v[14:15], -v[48:49]
	v_fmac_f64_e32 v[44:45], s[6:7], v[74:75]
	v_fmac_f64_e32 v[50:51], s[14:15], v[72:73]
	;; [unrolled: 1-line block ×4, first 2 shown]
	s_mov_b32 s17, 0x3fd87de2
	s_mov_b32 s19, 0xbfed906b
	;; [unrolled: 1-line block ×4, first 2 shown]
	v_add_f64 v[24:25], v[4:5], -v[24:25]
	v_fma_f64 v[52:53], s[16:17], v[44:45], v[26:27]
	v_fma_f64 v[54:55], s[16:17], v[50:51], v[36:37]
	;; [unrolled: 1-line block ×6, first 2 shown]
	s_mov_b32 s21, 0xbfd87de2
	s_mov_b32 s20, s16
	v_add_f64 v[40:41], v[10:11], -v[34:35]
	v_add_f64 v[42:43], v[16:17], v[24:25]
	v_fmac_f64_e32 v[52:53], s[18:19], v[50:51]
	v_fmac_f64_e32 v[54:55], s[22:23], v[44:45]
	;; [unrolled: 1-line block ×6, first 2 shown]
	v_lshlrev_b16_e32 v80, 4, v226
	s_barrier
	scratch_store_dword off, v80, off offset:116 ; 4-byte Folded Spill
	s_and_saveexec_b64 s[0:1], s[2:3]
	s_cbranch_execz .LBB0_7
; %bb.6:
	v_fma_f64 v[46:47], v[46:47], 2.0, -v[68:69]
	v_fma_f64 v[28:29], v[28:29], 2.0, -v[60:61]
	;; [unrolled: 1-line block ×3, first 2 shown]
	v_fma_f64 v[68:69], s[20:21], v[46:47], v[28:29]
	v_fmac_f64_e32 v[68:69], s[18:19], v[56:57]
	v_fma_f64 v[96:97], v[28:29], 2.0, -v[68:69]
	v_fma_f64 v[20:21], v[20:21], 2.0, -v[58:59]
	;; [unrolled: 1-line block ×3, first 2 shown]
	v_fma_f64 v[32:33], s[6:7], v[28:29], v[20:21]
	v_fma_f64 v[30:31], v[30:31], 2.0, -v[62:63]
	v_fma_f64 v[14:15], v[14:15], 2.0, -v[48:49]
	v_fmac_f64_e32 v[32:33], s[14:15], v[30:31]
	v_fma_f64 v[30:31], s[6:7], v[30:31], v[14:15]
	v_fma_f64 v[38:39], v[38:39], 2.0, -v[66:67]
	v_fmac_f64_e32 v[30:31], s[6:7], v[28:29]
	v_fma_f64 v[12:13], v[12:13], 2.0, -v[36:37]
	v_fma_f64 v[22:23], v[22:23], 2.0, -v[50:51]
	v_fma_f64 v[70:71], s[20:21], v[56:57], v[38:39]
	v_fma_f64 v[56:57], v[14:15], 2.0, -v[30:31]
	v_fma_f64 v[14:15], s[18:19], v[22:23], v[12:13]
	v_fma_f64 v[18:19], v[18:19], 2.0, -v[44:45]
	v_fmac_f64_e32 v[14:15], s[16:17], v[18:19]
	v_fma_f64 v[6:7], v[6:7], 2.0, -v[26:27]
	v_fma_f64 v[86:87], v[58:59], 2.0, -v[74:75]
	;; [unrolled: 1-line block ×4, first 2 shown]
	v_fma_f64 v[12:13], s[18:19], v[18:19], v[6:7]
	v_fmac_f64_e32 v[12:13], s[20:21], v[22:23]
	v_fma_f64 v[18:19], v[6:7], 2.0, -v[12:13]
	v_fma_f64 v[6:7], v[2:3], 2.0, -v[16:17]
	;; [unrolled: 1-line block ×5, first 2 shown]
	v_add_f64 v[0:1], v[8:9], -v[0:1]
	v_add_f64 v[2:3], v[6:7], -v[2:3]
	v_fma_f64 v[4:5], v[8:9], 2.0, -v[0:1]
	v_lshlrev_b16_e32 v8, 4, v226
	v_fmac_f64_e32 v[70:71], s[22:23], v[46:47]
	v_fma_f64 v[6:7], v[6:7], 2.0, -v[2:3]
	v_lshlrev_b32_e32 v8, 4, v8
	v_fma_f64 v[82:83], v[66:67], 2.0, -v[78:79]
	v_fma_f64 v[80:81], v[60:61], 2.0, -v[76:77]
	;; [unrolled: 1-line block ×8, first 2 shown]
	ds_write_b128 v8, v[4:7]
	ds_write_b128 v8, v[18:21] offset:16
	ds_write_b128 v8, v[56:59] offset:32
	;; [unrolled: 1-line block ×15, first 2 shown]
.LBB0_7:
	s_or_b64 exec, exec, s[0:1]
	s_mov_b64 s[0:1], 0x144
	v_and_b32_e32 v0, 15, v226
	v_lshl_add_u64 v[152:153], v[226:227], 0, s[0:1]
	v_lshlrev_b32_e32 v1, 5, v0
	s_load_dwordx4 s[4:7], s[4:5], 0x0
	s_waitcnt lgkmcnt(0)
	s_barrier
	global_load_dwordx4 v[12:15], v1, s[10:11] offset:16
	global_load_dwordx4 v[8:11], v1, s[10:11]
	s_mov_b64 s[0:1], 0x288
	v_and_b32_e32 v1, 15, v152
	v_lshl_add_u64 v[160:161], v[226:227], 0, s[0:1]
	v_lshlrev_b32_e32 v2, 5, v1
	global_load_dwordx4 v[20:23], v2, s[10:11] offset:16
	global_load_dwordx4 v[16:19], v2, s[10:11]
	v_and_b32_e32 v2, 15, v160
	v_lshlrev_b32_e32 v3, 5, v2
	s_mov_b64 s[0:1], 0x3cc
	global_load_dwordx4 v[128:131], v3, s[10:11] offset:16
	global_load_dwordx4 v[28:31], v3, s[10:11]
	v_lshl_add_u64 v[168:169], v[226:227], 0, s[0:1]
	v_and_b32_e32 v3, 15, v168
	v_lshlrev_b32_e32 v4, 5, v3
	global_load_dwordx4 v[24:27], v4, s[10:11]
	global_load_dwordx4 v[132:135], v4, s[10:11] offset:16
	v_mov_b32_e32 v4, 4
	v_lshlrev_b32_sdwa v229, v4, v226 dst_sel:DWORD dst_unused:UNUSED_PAD src0_sel:DWORD src1_sel:WORD_0
	ds_read_b128 v[32:35], v229 offset:5184
	ds_read_b128 v[36:39], v229 offset:10368
	ds_read_b128 v[44:47], v229 offset:25920
	ds_read_b128 v[48:51], v229 offset:31104
	ds_read_b128 v[56:59], v229 offset:46656
	ds_read_b128 v[60:63], v229 offset:51840
	ds_read_b128 v[64:67], v229 offset:20736
	ds_read_b128 v[68:71], v229 offset:15552
	ds_read_b128 v[80:83], v229 offset:41472
	ds_read_b128 v[84:87], v229 offset:36288
	ds_read_b128 v[88:91], v229
	ds_read_b128 v[92:95], v229 offset:57024
	v_lshrrev_b32_e32 v4, 4, v226
	s_mov_b32 s0, 0xe8584caa
	v_mul_u32_u24_e32 v4, 48, v4
	s_mov_b32 s1, 0x3febb67a
	s_mov_b32 s15, 0xbfebb67a
	;; [unrolled: 1-line block ×3, first 2 shown]
	v_or_b32_e32 v0, v4, v0
	v_lshlrev_b32_e32 v0, 4, v0
	s_mov_b32 s16, 0xaaab
	v_mov_b32_e32 v231, 0
	v_mul_u32_u24_sdwa v4, v160, s16 dst_sel:DWORD dst_unused:UNUSED_PAD src0_sel:WORD_0 src1_sel:DWORD
	v_lshrrev_b32_e32 v4, 21, v4
	v_mul_lo_u16_e32 v5, 48, v4
	v_mul_u32_u24_sdwa v6, v168, s16 dst_sel:DWORD dst_unused:UNUSED_PAD src0_sel:WORD_0 src1_sel:DWORD
	v_sub_u16_e32 v5, v160, v5
	v_lshrrev_b32_e32 v6, 21, v6
	v_mul_lo_u16_e32 v7, 48, v6
	v_sub_u16_e32 v7, v168, v7
	s_movk_i32 s20, 0x1000
	s_movk_i32 s18, 0xff94
	s_mov_b32 s19, -1
	s_waitcnt vmcnt(7) lgkmcnt(3)
	v_mul_f64 v[100:101], v[82:83], v[14:15]
	s_waitcnt vmcnt(6)
	v_mul_f64 v[96:97], v[66:67], v[10:11]
	v_mul_f64 v[98:99], v[64:65], v[10:11]
	;; [unrolled: 1-line block ×3, first 2 shown]
	v_fma_f64 v[64:65], v[64:65], v[8:9], -v[96:97]
	v_fmac_f64_e32 v[98:99], v[66:67], v[8:9]
	v_fma_f64 v[66:67], v[80:81], v[12:13], -v[100:101]
	v_fmac_f64_e32 v[102:103], v[82:83], v[12:13]
	s_waitcnt vmcnt(5)
	v_mul_f64 v[96:97], v[58:59], v[22:23]
	v_add_f64 v[122:123], v[64:65], v[66:67]
	s_waitcnt vmcnt(2)
	v_mul_f64 v[106:107], v[48:49], v[30:31]
	v_mul_f64 v[104:105], v[50:51], v[30:31]
	v_fmac_f64_e32 v[106:107], v[50:51], v[28:29]
	v_add_f64 v[50:51], v[98:99], v[102:103]
	v_mul_f64 v[80:81], v[46:47], v[18:19]
	v_mul_f64 v[82:83], v[44:45], v[18:19]
	;; [unrolled: 1-line block ×3, first 2 shown]
	s_waitcnt lgkmcnt(1)
	v_add_f64 v[120:121], v[88:89], v[64:65]
	v_add_f64 v[124:125], v[98:99], -v[102:103]
	v_add_f64 v[126:127], v[90:91], v[98:99]
	v_fma_f64 v[96:97], v[56:57], v[20:21], -v[96:97]
	v_fmac_f64_e32 v[88:89], -0.5, v[122:123]
	v_fmac_f64_e32 v[90:91], -0.5, v[50:51]
	v_add_f64 v[56:57], v[64:65], -v[66:67]
	v_fma_f64 v[80:81], v[44:45], v[16:17], -v[80:81]
	v_fmac_f64_e32 v[82:83], v[46:47], v[16:17]
	v_fma_f64 v[104:105], v[48:49], v[28:29], -v[104:105]
	v_add_f64 v[44:45], v[120:121], v[66:67]
	v_fma_f64 v[48:49], s[0:1], v[124:125], v[88:89]
	v_fmac_f64_e32 v[88:89], s[14:15], v[124:125]
	v_add_f64 v[46:47], v[126:127], v[102:103]
	v_fma_f64 v[50:51], s[14:15], v[56:57], v[90:91]
	v_fmac_f64_e32 v[90:91], s[0:1], v[56:57]
	scratch_store_dwordx4 off, v[128:131], off offset:100 ; 16-byte Folded Spill
	s_waitcnt vmcnt(1)
	scratch_store_dwordx4 off, v[132:135], off offset:84 ; 16-byte Folded Spill
	s_waitcnt lgkmcnt(0)
	s_barrier
	ds_write_b128 v0, v[44:47]
	ds_write_b128 v0, v[48:51] offset:256
	scratch_store_dword off, v0, off        ; 4-byte Folded Spill
	ds_write_b128 v0, v[88:91] offset:512
	v_lshrrev_b32_e32 v0, 4, v152
	v_mul_u32_u24_e32 v0, 48, v0
	v_or_b32_e32 v0, v0, v1
	v_lshlrev_b32_e32 v48, 4, v0
	v_lshrrev_b32_e32 v0, 4, v160
	v_mul_u32_u24_e32 v0, 48, v0
	v_mul_f64 v[110:111], v[60:61], v[130:131]
	v_fmac_f64_e32 v[100:101], v[58:59], v[20:21]
	v_add_f64 v[58:59], v[80:81], v[96:97]
	v_or_b32_e32 v0, v0, v2
	v_mul_f64 v[108:109], v[62:63], v[130:131]
	v_fmac_f64_e32 v[110:111], v[62:63], v[128:129]
	v_add_f64 v[56:57], v[32:33], v[80:81]
	v_fmac_f64_e32 v[32:33], -0.5, v[58:59]
	v_add_f64 v[58:59], v[82:83], -v[100:101]
	v_add_f64 v[62:63], v[82:83], v[100:101]
	v_lshlrev_b32_e32 v50, 4, v0
	v_lshrrev_b32_e32 v0, 4, v168
	v_fma_f64 v[108:109], v[60:61], v[128:129], -v[108:109]
	v_fma_f64 v[60:61], s[0:1], v[58:59], v[32:33]
	v_fmac_f64_e32 v[32:33], s[14:15], v[58:59]
	v_add_f64 v[58:59], v[34:35], v[82:83]
	v_fmac_f64_e32 v[34:35], -0.5, v[62:63]
	v_add_f64 v[64:65], v[80:81], -v[96:97]
	v_mul_u32_u24_e32 v0, 48, v0
	v_add_f64 v[56:57], v[56:57], v[96:97]
	v_add_f64 v[58:59], v[58:59], v[100:101]
	v_fma_f64 v[62:63], s[14:15], v[64:65], v[34:35]
	v_fmac_f64_e32 v[34:35], s[0:1], v[64:65]
	v_or_b32_e32 v0, v0, v3
	v_mul_f64 v[112:113], v[86:87], v[26:27]
	v_mul_f64 v[116:117], v[94:95], v[134:135]
	v_add_f64 v[66:67], v[104:105], v[108:109]
	ds_write_b128 v48, v[56:59]
	ds_write_b128 v48, v[60:63] offset:256
	ds_write_b128 v48, v[32:35] offset:512
	v_lshlrev_b32_e32 v35, 4, v0
	v_mul_u32_u24_sdwa v0, v226, s16 dst_sel:DWORD dst_unused:UNUSED_PAD src0_sel:WORD_0 src1_sel:DWORD
	v_mul_f64 v[114:115], v[84:85], v[26:27]
	v_mul_f64 v[118:119], v[92:93], v[134:135]
	v_fma_f64 v[112:113], v[84:85], v[24:25], -v[112:113]
	v_fma_f64 v[116:117], v[92:93], v[132:133], -v[116:117]
	v_add_f64 v[64:65], v[36:37], v[104:105]
	v_fmac_f64_e32 v[36:37], -0.5, v[66:67]
	v_add_f64 v[66:67], v[106:107], -v[110:111]
	v_add_f64 v[82:83], v[106:107], v[110:111]
	v_lshrrev_b32_e32 v0, 21, v0
	v_fmac_f64_e32 v[114:115], v[86:87], v[24:25]
	v_fmac_f64_e32 v[118:119], v[94:95], v[132:133]
	v_fma_f64 v[80:81], s[0:1], v[66:67], v[36:37]
	v_fmac_f64_e32 v[36:37], s[14:15], v[66:67]
	v_add_f64 v[66:67], v[38:39], v[106:107]
	v_fmac_f64_e32 v[38:39], -0.5, v[82:83]
	v_add_f64 v[84:85], v[104:105], -v[108:109]
	v_add_f64 v[86:87], v[112:113], v[116:117]
	v_mul_lo_u16_e32 v1, 48, v0
	v_fma_f64 v[82:83], s[14:15], v[84:85], v[38:39]
	v_fmac_f64_e32 v[38:39], s[0:1], v[84:85]
	v_add_f64 v[84:85], v[68:69], v[112:113]
	v_fmac_f64_e32 v[68:69], -0.5, v[86:87]
	v_add_f64 v[86:87], v[114:115], -v[118:119]
	v_sub_u16_e32 v1, v226, v1
	v_fma_f64 v[92:93], s[0:1], v[86:87], v[68:69]
	v_fmac_f64_e32 v[68:69], s[14:15], v[86:87]
	v_add_f64 v[86:87], v[70:71], v[114:115]
	v_add_f64 v[94:95], v[114:115], v[118:119]
	v_lshlrev_b16_e32 v230, 5, v1
	v_mul_u32_u24_sdwa v2, v152, s16 dst_sel:DWORD dst_unused:UNUSED_PAD src0_sel:WORD_0 src1_sel:DWORD
	v_add_f64 v[64:65], v[64:65], v[108:109]
	v_add_f64 v[66:67], v[66:67], v[110:111]
	;; [unrolled: 1-line block ×4, first 2 shown]
	v_fmac_f64_e32 v[70:71], -0.5, v[94:95]
	v_add_f64 v[96:97], v[112:113], -v[116:117]
	v_lshl_add_u64 v[32:33], s[10:11], 0, v[230:231]
	v_lshrrev_b32_e32 v2, 21, v2
	v_fma_f64 v[94:95], s[14:15], v[96:97], v[70:71]
	v_fmac_f64_e32 v[70:71], s[0:1], v[96:97]
	ds_write_b128 v50, v[64:67]
	ds_write_b128 v50, v[80:83] offset:256
	ds_write_b128 v50, v[36:39] offset:512
	ds_write_b128 v35, v[84:87]
	ds_write_b128 v35, v[92:95] offset:256
	ds_write_b128 v35, v[68:71] offset:512
	s_waitcnt lgkmcnt(0)
	s_barrier
	global_load_dwordx4 v[44:47], v[32:33], off offset:512
	global_load_dwordx4 v[36:39], v[32:33], off offset:528
	v_mul_lo_u16_e32 v3, 48, v2
	v_sub_u16_e32 v3, v152, v3
	v_lshlrev_b16_e32 v230, 5, v3
	v_lshl_add_u64 v[56:57], s[10:11], 0, v[230:231]
	global_load_dwordx4 v[60:63], v[56:57], off offset:512
	global_load_dwordx4 v[242:245], v[56:57], off offset:528
	v_lshlrev_b16_e32 v230, 5, v5
	v_lshl_add_u64 v[64:65], s[10:11], 0, v[230:231]
	global_load_dwordx4 v[140:143], v[64:65], off offset:512
	global_load_dwordx4 v[144:147], v[64:65], off offset:528
	;; [unrolled: 4-line block ×3, first 2 shown]
	ds_read_b128 v[80:83], v229 offset:5184
	ds_read_b128 v[84:87], v229 offset:10368
	;; [unrolled: 1-line block ×10, first 2 shown]
	ds_read_b128 v[120:123], v229
	ds_read_b128 v[124:127], v229 offset:57024
	s_movk_i32 s16, 0x90
	v_mad_legacy_u16 v0, v0, s16, v1
	v_lshlrev_b32_e32 v70, 4, v0
	v_mad_legacy_u16 v0, v2, s16, v3
	v_lshlrev_b32_e32 v71, 4, v0
	;; [unrolled: 2-line block ×3, first 2 shown]
	v_mad_legacy_u16 v0, v6, s16, v7
	s_mov_b32 s16, 0xe38f
	v_mul_u32_u24_sdwa v2, v152, s16 dst_sel:DWORD dst_unused:UNUSED_PAD src0_sel:WORD_0 src1_sel:DWORD
	v_lshrrev_b32_e32 v2, 23, v2
	v_mul_lo_u16_e32 v3, 0x90, v2
	v_mul_u32_u24_sdwa v4, v160, s16 dst_sel:DWORD dst_unused:UNUSED_PAD src0_sel:WORD_0 src1_sel:DWORD
	v_sub_u16_e32 v3, v152, v3
	v_lshrrev_b32_e32 v4, 23, v4
	v_mul_lo_u16_e32 v5, 0x90, v4
	v_mul_u32_u24_sdwa v6, v168, s16 dst_sel:DWORD dst_unused:UNUSED_PAD src0_sel:WORD_0 src1_sel:DWORD
	v_sub_u16_e32 v5, v160, v5
	v_lshrrev_b32_e32 v6, 23, v6
	v_mul_lo_u16_e32 v7, 0x90, v6
	v_sub_u16_e32 v7, v168, v7
	s_waitcnt vmcnt(7) lgkmcnt(5)
	v_mul_f64 v[128:129], v[106:107], v[46:47]
	v_fma_f64 v[128:129], v[104:105], v[44:45], -v[128:129]
	v_mul_f64 v[104:105], v[104:105], v[46:47]
	v_fmac_f64_e32 v[104:105], v[106:107], v[44:45]
	s_waitcnt vmcnt(6) lgkmcnt(3)
	v_mul_f64 v[106:107], v[114:115], v[38:39]
	v_fma_f64 v[106:107], v[112:113], v[36:37], -v[106:107]
	v_mul_f64 v[112:113], v[112:113], v[38:39]
	v_fmac_f64_e32 v[112:113], v[114:115], v[36:37]
	s_waitcnt vmcnt(5)
	v_mul_f64 v[114:115], v[90:91], v[62:63]
	v_fma_f64 v[114:115], v[88:89], v[60:61], -v[114:115]
	v_mul_f64 v[130:131], v[88:89], v[62:63]
	s_waitcnt vmcnt(4)
	v_mul_f64 v[88:89], v[98:99], v[244:245]
	v_fma_f64 v[132:133], v[96:97], v[242:243], -v[88:89]
	s_waitcnt vmcnt(3)
	v_mul_f64 v[88:89], v[94:95], v[142:143]
	v_fma_f64 v[136:137], v[92:93], v[140:141], -v[88:89]
	v_mul_f64 v[138:139], v[92:93], v[142:143]
	s_waitcnt vmcnt(2)
	v_mul_f64 v[88:89], v[102:103], v[146:147]
	scratch_store_dwordx4 off, v[140:143], off offset:20 ; 16-byte Folded Spill
	v_fmac_f64_e32 v[138:139], v[94:95], v[140:141]
	v_fmac_f64_e32 v[130:131], v[90:91], v[60:61]
	v_fma_f64 v[140:141], v[100:101], v[144:145], -v[88:89]
	v_mul_f64 v[142:143], v[100:101], v[146:147]
	s_waitcnt vmcnt(2) lgkmcnt(2)
	v_mul_f64 v[88:89], v[118:119], v[150:151]
	scratch_store_dwordx4 off, v[144:147], off offset:4 ; 16-byte Folded Spill
	v_fmac_f64_e32 v[142:143], v[102:103], v[144:145]
	v_add_f64 v[90:91], v[128:129], v[106:107]
	v_fma_f64 v[144:145], v[116:117], v[148:149], -v[88:89]
	v_mul_f64 v[146:147], v[116:117], v[150:151]
	s_waitcnt vmcnt(2) lgkmcnt(0)
	v_mul_f64 v[88:89], v[126:127], v[66:67]
	v_mul_f64 v[134:135], v[96:97], v[244:245]
	scratch_store_dwordx4 off, v[148:151], off offset:36 ; 16-byte Folded Spill
	v_fmac_f64_e32 v[146:147], v[118:119], v[148:149]
	v_add_f64 v[94:95], v[104:105], v[112:113]
	v_fma_f64 v[148:149], v[124:125], v[64:65], -v[88:89]
	v_add_f64 v[88:89], v[120:121], v[128:129]
	v_fmac_f64_e32 v[120:121], -0.5, v[90:91]
	v_add_f64 v[90:91], v[104:105], -v[112:113]
	v_fmac_f64_e32 v[134:135], v[98:99], v[242:243]
	v_fma_f64 v[92:93], s[0:1], v[90:91], v[120:121]
	v_fmac_f64_e32 v[120:121], s[14:15], v[90:91]
	v_add_f64 v[90:91], v[122:123], v[104:105]
	v_fmac_f64_e32 v[122:123], -0.5, v[94:95]
	v_add_f64 v[96:97], v[128:129], -v[106:107]
	v_add_f64 v[98:99], v[114:115], v[132:133]
	v_fma_f64 v[94:95], s[14:15], v[96:97], v[122:123]
	v_fmac_f64_e32 v[122:123], s[0:1], v[96:97]
	v_add_f64 v[96:97], v[80:81], v[114:115]
	v_fmac_f64_e32 v[80:81], -0.5, v[98:99]
	v_add_f64 v[98:99], v[130:131], -v[134:135]
	v_add_f64 v[102:103], v[130:131], v[134:135]
	v_add_f64 v[88:89], v[88:89], v[106:107]
	v_fma_f64 v[100:101], s[0:1], v[98:99], v[80:81]
	v_fmac_f64_e32 v[80:81], s[14:15], v[98:99]
	v_add_f64 v[98:99], v[82:83], v[130:131]
	v_fmac_f64_e32 v[82:83], -0.5, v[102:103]
	v_add_f64 v[104:105], v[114:115], -v[132:133]
	v_add_f64 v[106:107], v[136:137], v[140:141]
	v_fma_f64 v[102:103], s[14:15], v[104:105], v[82:83]
	v_fmac_f64_e32 v[82:83], s[0:1], v[104:105]
	v_add_f64 v[104:105], v[84:85], v[136:137]
	v_fmac_f64_e32 v[84:85], -0.5, v[106:107]
	v_add_f64 v[106:107], v[138:139], -v[142:143]
	v_add_f64 v[90:91], v[90:91], v[112:113]
	v_fma_f64 v[112:113], s[0:1], v[106:107], v[84:85]
	v_fmac_f64_e32 v[84:85], s[14:15], v[106:107]
	v_add_f64 v[106:107], v[86:87], v[138:139]
	v_add_f64 v[114:115], v[138:139], v[142:143]
	;; [unrolled: 1-line block ×6, first 2 shown]
	v_fmac_f64_e32 v[86:87], -0.5, v[114:115]
	v_add_f64 v[116:117], v[136:137], -v[140:141]
	v_fma_f64 v[114:115], s[14:15], v[116:117], v[86:87]
	v_fmac_f64_e32 v[86:87], s[0:1], v[116:117]
	s_barrier
	ds_write_b128 v70, v[88:91]
	ds_write_b128 v70, v[92:95] offset:768
	ds_write_b128 v70, v[120:123] offset:1536
	ds_write_b128 v71, v[96:99]
	ds_write_b128 v71, v[100:103] offset:768
	ds_write_b128 v71, v[80:83] offset:1536
	;; [unrolled: 3-line block ×3, first 2 shown]
	v_lshlrev_b32_e32 v106, 4, v0
	v_mul_u32_u24_sdwa v0, v226, s16 dst_sel:DWORD dst_unused:UNUSED_PAD src0_sel:WORD_0 src1_sel:DWORD
	v_mul_f64 v[150:151], v[124:125], v[66:67]
	v_lshrrev_b32_e32 v0, 23, v0
	v_fmac_f64_e32 v[150:151], v[126:127], v[64:65]
	v_add_f64 v[118:119], v[144:145], v[148:149]
	v_mul_lo_u16_e32 v1, 0x90, v0
	v_add_f64 v[116:117], v[108:109], v[144:145]
	v_fmac_f64_e32 v[108:109], -0.5, v[118:119]
	v_add_f64 v[118:119], v[146:147], -v[150:151]
	v_sub_u16_e32 v1, v226, v1
	v_fma_f64 v[124:125], s[0:1], v[118:119], v[108:109]
	v_fmac_f64_e32 v[108:109], s[14:15], v[118:119]
	v_add_f64 v[118:119], v[110:111], v[146:147]
	v_add_f64 v[126:127], v[146:147], v[150:151]
	v_lshlrev_b16_e32 v230, 5, v1
	v_add_f64 v[116:117], v[116:117], v[148:149]
	v_add_f64 v[118:119], v[118:119], v[150:151]
	v_fmac_f64_e32 v[110:111], -0.5, v[126:127]
	v_add_f64 v[128:129], v[144:145], -v[148:149]
	v_lshl_add_u64 v[80:81], s[10:11], 0, v[230:231]
	v_fma_f64 v[126:127], s[14:15], v[128:129], v[110:111]
	v_fmac_f64_e32 v[110:111], s[0:1], v[128:129]
	ds_write_b128 v106, v[116:119]
	ds_write_b128 v106, v[124:127] offset:768
	ds_write_b128 v106, v[108:111] offset:1536
	s_waitcnt lgkmcnt(0)
	s_barrier
	global_load_dwordx4 v[84:87], v[80:81], off offset:2048
	s_nop 0
	global_load_dwordx4 v[80:83], v[80:81], off offset:2064
	v_lshlrev_b16_e32 v230, 5, v3
	v_lshl_add_u64 v[96:97], s[10:11], 0, v[230:231]
	global_load_dwordx4 v[98:101], v[96:97], off offset:2048
	global_load_dwordx4 v[238:241], v[96:97], off offset:2064
	v_lshlrev_b16_e32 v230, 5, v5
	v_lshl_add_u64 v[96:97], s[10:11], 0, v[230:231]
	global_load_dwordx4 v[108:111], v[96:97], off offset:2048
	s_nop 0
	global_load_dwordx4 v[94:97], v[96:97], off offset:2064
	v_lshlrev_b16_e32 v230, 5, v7
	v_lshl_add_u64 v[104:105], s[10:11], 0, v[230:231]
	global_load_dwordx4 v[174:177], v[104:105], off offset:2048
	s_nop 0
	global_load_dwordx4 v[102:105], v[104:105], off offset:2064
	ds_read_b128 v[116:119], v229 offset:25920
	ds_read_b128 v[120:123], v229 offset:31104
	;; [unrolled: 1-line block ×8, first 2 shown]
	s_movk_i32 s16, 0x1b0
	v_mad_legacy_u16 v0, v0, s16, v1
	v_lshlrev_b32_e32 v228, 4, v0
	v_mad_legacy_u16 v0, v2, s16, v3
	v_lshlrev_b32_e32 v107, 4, v0
	;; [unrolled: 2-line block ×3, first 2 shown]
	v_lshrrev_b16_e32 v2, 4, v168
	v_mul_u32_u24_e32 v2, 0x12f7, v2
	v_lshrrev_b32_e32 v2, 17, v2
	v_mul_lo_u16_e32 v2, 0x1b0, v2
	v_sub_u16_e32 v2, v168, v2
	v_mov_b32_e32 v3, 0x510
	s_waitcnt vmcnt(7) lgkmcnt(5)
	v_mul_f64 v[144:145], v[126:127], v[86:87]
	v_fma_f64 v[144:145], v[124:125], v[84:85], -v[144:145]
	v_mul_f64 v[146:147], v[124:125], v[86:87]
	s_waitcnt vmcnt(6) lgkmcnt(1)
	v_mul_f64 v[124:125], v[138:139], v[82:83]
	v_fma_f64 v[148:149], v[136:137], v[80:81], -v[124:125]
	v_mul_f64 v[136:137], v[136:137], v[82:83]
	s_waitcnt vmcnt(5)
	v_mul_f64 v[124:125], v[118:119], v[100:101]
	v_fmac_f64_e32 v[136:137], v[138:139], v[80:81]
	v_fma_f64 v[138:139], v[116:117], v[98:99], -v[124:125]
	v_mul_f64 v[150:151], v[116:117], v[100:101]
	s_waitcnt vmcnt(4)
	v_mul_f64 v[116:117], v[130:131], v[240:241]
	v_fma_f64 v[154:155], v[128:129], v[238:239], -v[116:117]
	s_waitcnt vmcnt(3)
	v_mul_f64 v[116:117], v[122:123], v[110:111]
	v_fma_f64 v[158:159], v[120:121], v[108:109], -v[116:117]
	s_waitcnt vmcnt(2)
	v_mul_f64 v[116:117], v[134:135], v[96:97]
	v_fmac_f64_e32 v[150:151], v[118:119], v[98:99]
	v_mul_f64 v[162:163], v[120:121], v[110:111]
	v_fma_f64 v[164:165], v[132:133], v[94:95], -v[116:117]
	s_waitcnt vmcnt(1) lgkmcnt(0)
	v_mul_f64 v[120:121], v[142:143], v[176:177]
	ds_read_b128 v[116:119], v229 offset:57024
	v_fmac_f64_e32 v[162:163], v[122:123], v[108:109]
	v_fma_f64 v[170:171], v[140:141], v[174:175], -v[120:121]
	ds_read_b128 v[120:123], v229
	v_fmac_f64_e32 v[146:147], v[126:127], v[84:85]
	v_mul_f64 v[172:173], v[140:141], v[176:177]
	scratch_store_dwordx4 off, v[174:177], off offset:52 ; 16-byte Folded Spill
	s_waitcnt vmcnt(1) lgkmcnt(1)
	v_mul_f64 v[124:125], v[118:119], v[104:105]
	v_fmac_f64_e32 v[172:173], v[142:143], v[174:175]
	v_mul_f64 v[176:177], v[116:117], v[104:105]
	v_fma_f64 v[174:175], v[116:117], v[102:103], -v[124:125]
	v_fmac_f64_e32 v[176:177], v[118:119], v[102:103]
	s_waitcnt lgkmcnt(0)
	v_add_f64 v[116:117], v[120:121], v[144:145]
	v_add_f64 v[118:119], v[122:123], v[146:147]
	v_mul_f64 v[156:157], v[128:129], v[240:241]
	v_add_f64 v[116:117], v[116:117], v[148:149]
	v_add_f64 v[118:119], v[118:119], v[136:137]
	v_fmac_f64_e32 v[156:157], v[130:131], v[238:239]
	ds_read_b128 v[124:127], v229 offset:5184
	ds_read_b128 v[128:131], v229 offset:10368
	s_waitcnt lgkmcnt(0)
	s_barrier
	ds_write_b128 v228, v[116:119]
	v_add_f64 v[116:117], v[144:145], v[148:149]
	v_mul_f64 v[166:167], v[132:133], v[96:97]
	v_fmac_f64_e32 v[120:121], -0.5, v[116:117]
	v_add_f64 v[116:117], v[146:147], v[136:137]
	v_fmac_f64_e32 v[166:167], v[134:135], v[94:95]
	v_add_f64 v[132:133], v[146:147], -v[136:137]
	v_fmac_f64_e32 v[122:123], -0.5, v[116:117]
	v_add_f64 v[134:135], v[144:145], -v[148:149]
	v_fma_f64 v[116:117], s[0:1], v[132:133], v[120:121]
	v_fma_f64 v[118:119], s[14:15], v[134:135], v[122:123]
	ds_write_b128 v228, v[116:119] offset:2304
	v_add_f64 v[116:117], v[138:139], v[154:155]
	v_fmac_f64_e32 v[120:121], s[14:15], v[132:133]
	v_add_f64 v[118:119], v[124:125], v[138:139]
	v_fmac_f64_e32 v[124:125], -0.5, v[116:117]
	v_add_f64 v[132:133], v[150:151], -v[156:157]
	v_fma_f64 v[116:117], s[0:1], v[132:133], v[124:125]
	v_fmac_f64_e32 v[124:125], s[14:15], v[132:133]
	v_add_f64 v[132:133], v[118:119], v[154:155]
	v_add_f64 v[118:119], v[126:127], v[150:151]
	v_fmac_f64_e32 v[122:123], s[0:1], v[134:135]
	v_add_f64 v[134:135], v[118:119], v[156:157]
	v_add_f64 v[118:119], v[150:151], v[156:157]
	v_fmac_f64_e32 v[126:127], -0.5, v[118:119]
	v_add_f64 v[136:137], v[138:139], -v[154:155]
	v_fma_f64 v[118:119], s[14:15], v[136:137], v[126:127]
	v_fmac_f64_e32 v[126:127], s[0:1], v[136:137]
	v_add_f64 v[136:137], v[158:159], v[164:165]
	v_add_f64 v[138:139], v[128:129], v[158:159]
	v_fmac_f64_e32 v[128:129], -0.5, v[136:137]
	v_add_f64 v[140:141], v[162:163], -v[166:167]
	v_fma_f64 v[136:137], s[0:1], v[140:141], v[128:129]
	v_fmac_f64_e32 v[128:129], s[14:15], v[140:141]
	v_add_f64 v[140:141], v[138:139], v[164:165]
	v_add_f64 v[138:139], v[130:131], v[162:163]
	;; [unrolled: 1-line block ×4, first 2 shown]
	v_fmac_f64_e32 v[130:131], -0.5, v[138:139]
	v_add_f64 v[144:145], v[158:159], -v[164:165]
	v_fma_f64 v[138:139], s[14:15], v[144:145], v[130:131]
	v_fmac_f64_e32 v[130:131], s[0:1], v[144:145]
	v_add_f64 v[144:145], v[170:171], v[174:175]
	v_add_f64 v[146:147], v[112:113], v[170:171]
	v_fmac_f64_e32 v[112:113], -0.5, v[144:145]
	v_add_f64 v[148:149], v[172:173], -v[176:177]
	v_fma_f64 v[144:145], s[0:1], v[148:149], v[112:113]
	v_fmac_f64_e32 v[112:113], s[14:15], v[148:149]
	v_add_f64 v[148:149], v[146:147], v[174:175]
	v_add_f64 v[146:147], v[114:115], v[172:173]
	;; [unrolled: 1-line block ×4, first 2 shown]
	ds_write_b128 v228, v[120:123] offset:4608
	ds_write_b128 v107, v[132:135]
	ds_write_b128 v107, v[116:119] offset:2304
	ds_write_b128 v107, v[124:127] offset:4608
	v_lshlrev_b32_e32 v118, 4, v0
	v_mad_legacy_u16 v0, v6, s16, v7
	v_fmac_f64_e32 v[114:115], -0.5, v[146:147]
	v_add_f64 v[154:155], v[170:171], -v[174:175]
	v_lshlrev_b32_e32 v119, 4, v0
	v_fma_f64 v[146:147], s[14:15], v[154:155], v[114:115]
	v_fmac_f64_e32 v[114:115], s[0:1], v[154:155]
	ds_write_b128 v118, v[140:143]
	ds_write_b128 v118, v[136:139] offset:2304
	ds_write_b128 v118, v[128:131] offset:4608
	ds_write_b128 v119, v[148:151]
	ds_write_b128 v119, v[144:147] offset:2304
	ds_write_b128 v119, v[112:115] offset:4608
	v_lshl_add_u64 v[148:149], s[10:11], 0, v[230:231]
	v_add_co_u32_e32 v112, vcc, s20, v148
	s_mov_b64 s[16:17], 0x1a00
	s_nop 0
	v_addc_co_u32_e32 v113, vcc, 0, v149, vcc
	v_lshl_add_u64 v[120:121], v[226:227], 0, s[18:19]
	s_movk_i32 s18, 0x6c
	s_waitcnt lgkmcnt(0)
	s_barrier
	v_lshl_add_u64 v[116:117], v[148:149], 0, s[16:17]
	global_load_dwordx4 v[112:115], v[112:113], off offset:2560
	s_nop 0
	global_load_dwordx4 v[4:7], v[116:117], off offset:16
	v_cmp_gt_u16_e32 vcc, s18, v226
	v_lshrrev_b16_e32 v0, 4, v160
	v_mul_u32_u24_e32 v0, 0x12f7, v0
	v_cndmask_b32_e32 v151, v121, v153, vcc
	v_cndmask_b32_e32 v150, v120, v152, vcc
	v_lshlrev_b64 v[120:121], 5, v[150:151]
	v_lshl_add_u64 v[120:121], s[10:11], 0, v[120:121]
	v_lshrrev_b32_e32 v0, 17, v0
	v_add_co_u32_e32 v122, vcc, s20, v120
	v_mul_lo_u16_e32 v1, 0x1b0, v0
	s_nop 0
	v_addc_co_u32_e32 v123, vcc, 0, v121, vcc
	v_lshl_add_u64 v[124:125], v[120:121], 0, s[16:17]
	v_sub_u16_e32 v1, v160, v1
	global_load_dwordx4 v[120:123], v[122:123], off offset:2560
	s_nop 0
	global_load_dwordx4 v[124:127], v[124:125], off offset:16
	v_lshlrev_b16_e32 v230, 5, v1
	v_lshl_add_u64 v[128:129], s[10:11], 0, v[230:231]
	v_add_co_u32_e32 v130, vcc, s20, v128
	v_lshlrev_b16_e32 v230, 5, v2
	s_nop 0
	v_addc_co_u32_e32 v131, vcc, 0, v129, vcc
	v_lshl_add_u64 v[140:141], s[10:11], 0, v[230:231]
	v_lshl_add_u64 v[132:133], v[128:129], 0, s[16:17]
	v_add_co_u32_e32 v136, vcc, s20, v140
	global_load_dwordx4 v[128:131], v[130:131], off offset:2560
	s_nop 0
	global_load_dwordx4 v[132:135], v[132:133], off offset:16
	v_addc_co_u32_e32 v137, vcc, 0, v141, vcc
	global_load_dwordx4 v[136:139], v[136:137], off offset:2560
	v_lshl_add_u64 v[140:141], v[140:141], 0, s[16:17]
	global_load_dwordx4 v[140:143], v[140:141], off offset:16
	ds_read_b128 v[154:157], v229 offset:20736
	ds_read_b128 v[144:147], v229 offset:15552
	;; [unrolled: 1-line block ×4, first 2 shown]
	s_movk_i32 s16, 0x6b
	v_cmp_lt_u16_e32 vcc, s16, v226
	s_movk_i32 s16, 0x510
	v_mad_legacy_u16 v0, v0, s16, v1
	v_cndmask_b32_e32 v3, 0, v3, vcc
	v_add_lshl_u32 v116, v150, v3, 4
	v_lshlrev_b32_e32 v117, 4, v0
	v_lshlrev_b32_e32 v227, 4, v2
	s_movk_i32 s18, 0x5000
	s_mov_b64 s[16:17], 0x5000
	v_lshlrev_b32_e32 v230, 5, v152
	s_waitcnt vmcnt(7) lgkmcnt(3)
	v_mul_f64 v[158:159], v[156:157], v[114:115]
	v_mul_f64 v[166:167], v[154:155], v[114:115]
	v_fma_f64 v[158:159], v[154:155], v[112:113], -v[158:159]
	v_fmac_f64_e32 v[166:167], v[156:157], v[112:113]
	ds_read_b128 v[154:157], v229 offset:25920
	s_waitcnt vmcnt(6) lgkmcnt(2)
	v_mul_f64 v[174:175], v[164:165], v[6:7]
	v_fma_f64 v[178:179], v[162:163], v[4:5], -v[174:175]
	v_mul_f64 v[180:181], v[162:163], v[6:7]
	ds_read_b128 v[174:177], v229 offset:46656
	v_fmac_f64_e32 v[180:181], v[164:165], v[4:5]
	ds_read_b128 v[162:165], v229 offset:31104
	scratch_store_dwordx4 off, v[4:7], off offset:68 ; 16-byte Folded Spill
	v_add_f64 v[206:207], v[166:167], -v[180:181]
	s_waitcnt vmcnt(6) lgkmcnt(2)
	v_mul_f64 v[182:183], v[156:157], v[122:123]
	v_mul_f64 v[184:185], v[154:155], v[122:123]
	v_fma_f64 v[182:183], v[154:155], v[120:121], -v[182:183]
	v_fmac_f64_e32 v[184:185], v[156:157], v[120:121]
	ds_read_b128 v[154:157], v229 offset:51840
	s_waitcnt vmcnt(5) lgkmcnt(2)
	v_mul_f64 v[186:187], v[176:177], v[126:127]
	v_fma_f64 v[186:187], v[174:175], v[124:125], -v[186:187]
	v_mul_f64 v[188:189], v[174:175], v[126:127]
	v_fmac_f64_e32 v[188:189], v[176:177], v[124:125]
	v_add_f64 v[150:151], v[182:183], v[186:187]
	s_waitcnt vmcnt(4) lgkmcnt(1)
	v_mul_f64 v[174:175], v[164:165], v[130:131]
	v_fma_f64 v[190:191], v[162:163], v[128:129], -v[174:175]
	v_mul_f64 v[192:193], v[162:163], v[130:131]
	s_waitcnt vmcnt(3) lgkmcnt(0)
	v_mul_f64 v[162:163], v[156:157], v[134:135]
	v_mul_f64 v[196:197], v[154:155], v[134:135]
	v_fma_f64 v[194:195], v[154:155], v[132:133], -v[162:163]
	v_fmac_f64_e32 v[196:197], v[156:157], v[132:133]
	s_waitcnt vmcnt(2)
	v_mul_f64 v[162:163], v[172:173], v[138:139]
	ds_read_b128 v[154:157], v229 offset:57024
	v_fmac_f64_e32 v[192:193], v[164:165], v[128:129]
	v_fma_f64 v[198:199], v[170:171], v[136:137], -v[162:163]
	ds_read_b128 v[162:165], v229
	v_mul_f64 v[200:201], v[170:171], v[138:139]
	s_waitcnt vmcnt(1) lgkmcnt(1)
	v_mul_f64 v[170:171], v[156:157], v[142:143]
	v_mul_f64 v[204:205], v[154:155], v[142:143]
	v_fma_f64 v[202:203], v[154:155], v[140:141], -v[170:171]
	v_fmac_f64_e32 v[204:205], v[156:157], v[140:141]
	s_waitcnt lgkmcnt(0)
	v_add_f64 v[154:155], v[162:163], v[158:159]
	v_add_f64 v[156:157], v[164:165], v[166:167]
	v_add_f64 v[154:155], v[154:155], v[178:179]
	v_add_f64 v[156:157], v[156:157], v[180:181]
	v_fmac_f64_e32 v[200:201], v[172:173], v[136:137]
	ds_read_b128 v[170:173], v229 offset:5184
	ds_read_b128 v[174:177], v229 offset:10368
	s_waitcnt lgkmcnt(0)
	s_barrier
	ds_write_b128 v229, v[154:157]
	v_add_f64 v[154:155], v[158:159], v[178:179]
	v_fmac_f64_e32 v[162:163], -0.5, v[154:155]
	v_add_f64 v[154:155], v[166:167], v[180:181]
	v_fmac_f64_e32 v[164:165], -0.5, v[154:155]
	v_add_f64 v[158:159], v[158:159], -v[178:179]
	v_fma_f64 v[154:155], s[0:1], v[206:207], v[162:163]
	v_fma_f64 v[156:157], s[14:15], v[158:159], v[164:165]
	ds_write_b128 v229, v[154:157] offset:6912
	v_add_f64 v[154:155], v[170:171], v[182:183]
	v_add_f64 v[156:157], v[172:173], v[184:185]
	v_fmac_f64_e32 v[162:163], s[14:15], v[206:207]
	v_fmac_f64_e32 v[164:165], s[0:1], v[158:159]
	v_add_f64 v[154:155], v[154:155], v[186:187]
	v_add_f64 v[156:157], v[156:157], v[188:189]
	ds_write_b128 v229, v[162:165] offset:13824
	ds_write_b128 v116, v[154:157]
	v_add_f64 v[154:155], v[184:185], v[188:189]
	v_fmac_f64_e32 v[170:171], -0.5, v[150:151]
	v_add_f64 v[150:151], v[184:185], -v[188:189]
	v_fmac_f64_e32 v[172:173], -0.5, v[154:155]
	v_add_f64 v[158:159], v[182:183], -v[186:187]
	v_fma_f64 v[154:155], s[0:1], v[150:151], v[170:171]
	v_fma_f64 v[156:157], s[14:15], v[158:159], v[172:173]
	v_fmac_f64_e32 v[170:171], s[14:15], v[150:151]
	v_add_f64 v[150:151], v[174:175], v[190:191]
	ds_write_b128 v116, v[154:157] offset:6912
	v_add_f64 v[154:155], v[150:151], v[194:195]
	v_add_f64 v[150:151], v[176:177], v[192:193]
	v_fmac_f64_e32 v[172:173], s[0:1], v[158:159]
	v_add_f64 v[156:157], v[150:151], v[196:197]
	ds_write_b128 v116, v[170:173] offset:13824
	ds_write_b128 v117, v[154:157]
	v_add_f64 v[150:151], v[190:191], v[194:195]
	v_add_f64 v[154:155], v[192:193], v[196:197]
	v_fmac_f64_e32 v[174:175], -0.5, v[150:151]
	v_add_f64 v[150:151], v[192:193], -v[196:197]
	v_fmac_f64_e32 v[176:177], -0.5, v[154:155]
	v_add_f64 v[158:159], v[190:191], -v[194:195]
	v_fma_f64 v[154:155], s[0:1], v[150:151], v[174:175]
	v_fma_f64 v[156:157], s[14:15], v[158:159], v[176:177]
	v_fmac_f64_e32 v[174:175], s[14:15], v[150:151]
	v_add_f64 v[150:151], v[144:145], v[198:199]
	ds_write_b128 v117, v[154:157] offset:6912
	v_add_f64 v[154:155], v[150:151], v[202:203]
	v_add_f64 v[150:151], v[146:147], v[200:201]
	;; [unrolled: 1-line block ×4, first 2 shown]
	v_fmac_f64_e32 v[176:177], s[0:1], v[158:159]
	v_fmac_f64_e32 v[144:145], -0.5, v[150:151]
	v_add_f64 v[150:151], v[200:201], -v[204:205]
	ds_write_b128 v117, v[174:177] offset:13824
	ds_write_b128 v227, v[154:157] offset:41472
	v_fma_f64 v[154:155], s[0:1], v[150:151], v[144:145]
	v_fmac_f64_e32 v[144:145], s[14:15], v[150:151]
	v_add_f64 v[150:151], v[200:201], v[204:205]
	v_fmac_f64_e32 v[146:147], -0.5, v[150:151]
	v_add_f64 v[150:151], v[198:199], -v[202:203]
	v_fma_f64 v[156:157], s[14:15], v[150:151], v[146:147]
	v_fmac_f64_e32 v[146:147], s[0:1], v[150:151]
	ds_write_b128 v227, v[154:157] offset:48384
	ds_write_b128 v227, v[144:147] offset:55296
	v_add_co_u32_e32 v144, vcc, s18, v148
	s_waitcnt lgkmcnt(0)
	s_nop 0
	v_addc_co_u32_e32 v145, vcc, 0, v149, vcc
	s_barrier
	global_load_dwordx4 v[144:147], v[144:145], off
	v_lshl_add_u64 v[148:149], v[148:149], 0, s[16:17]
	global_load_dwordx4 v[148:151], v[148:149], off offset:16
	v_lshl_add_u64 v[156:157], s[10:11], 0, v[230:231]
	v_add_co_u32_e32 v152, vcc, s18, v156
	v_lshlrev_b32_e32 v230, 5, v160
	s_nop 0
	v_addc_co_u32_e32 v153, vcc, 0, v157, vcc
	global_load_dwordx4 v[152:155], v[152:153], off
	v_lshl_add_u64 v[160:161], s[10:11], 0, v[230:231]
	v_lshl_add_u64 v[156:157], v[156:157], 0, s[16:17]
	global_load_dwordx4 v[156:159], v[156:157], off offset:16
	v_add_co_u32_e32 v162, vcc, s18, v160
	v_lshlrev_b32_e32 v230, 5, v168
	s_nop 0
	v_addc_co_u32_e32 v163, vcc, 0, v161, vcc
	v_lshl_add_u64 v[172:173], s[10:11], 0, v[230:231]
	v_lshl_add_u64 v[164:165], v[160:161], 0, s[16:17]
	v_add_co_u32_e32 v168, vcc, s18, v172
	global_load_dwordx4 v[160:163], v[162:163], off
	s_nop 0
	global_load_dwordx4 v[164:167], v[164:165], off offset:16
	v_addc_co_u32_e32 v169, vcc, 0, v173, vcc
	global_load_dwordx4 v[168:171], v[168:169], off
	v_lshl_add_u64 v[172:173], v[172:173], 0, s[16:17]
	global_load_dwordx4 v[88:91], v[172:173], off offset:16
	ds_read_b128 v[176:179], v229 offset:20736
	ds_read_b128 v[196:199], v229 offset:15552
	;; [unrolled: 1-line block ×4, first 2 shown]
	s_waitcnt vmcnt(7) lgkmcnt(3)
	v_mul_f64 v[184:185], v[178:179], v[146:147]
	v_fma_f64 v[192:193], v[176:177], v[144:145], -v[184:185]
	ds_read_b128 v[184:187], v229 offset:25920
	v_mul_f64 v[194:195], v[176:177], v[146:147]
	v_fmac_f64_e32 v[194:195], v[178:179], v[144:145]
	ds_read_b128 v[176:179], v229 offset:36288
	s_waitcnt vmcnt(6) lgkmcnt(3)
	v_mul_f64 v[188:189], v[182:183], v[150:151]
	v_fma_f64 v[200:201], v[180:181], v[148:149], -v[188:189]
	v_mul_f64 v[202:203], v[180:181], v[150:151]
	ds_read_b128 v[188:191], v229 offset:46656
	v_fmac_f64_e32 v[202:203], v[182:183], v[148:149]
	ds_read_b128 v[180:183], v229 offset:31104
	s_waitcnt vmcnt(5) lgkmcnt(3)
	v_mul_f64 v[204:205], v[186:187], v[154:155]
	v_mul_f64 v[206:207], v[184:185], v[154:155]
	v_fma_f64 v[204:205], v[184:185], v[152:153], -v[204:205]
	v_fmac_f64_e32 v[206:207], v[186:187], v[152:153]
	ds_read_b128 v[184:187], v229 offset:51840
	s_waitcnt vmcnt(4) lgkmcnt(2)
	v_mul_f64 v[208:209], v[190:191], v[158:159]
	v_fma_f64 v[216:217], v[188:189], v[156:157], -v[208:209]
	v_mul_f64 v[218:219], v[188:189], v[158:159]
	v_fmac_f64_e32 v[218:219], v[190:191], v[156:157]
	s_waitcnt vmcnt(3) lgkmcnt(1)
	v_mul_f64 v[188:189], v[182:183], v[162:163]
	v_fma_f64 v[220:221], v[180:181], v[160:161], -v[188:189]
	v_mul_f64 v[222:223], v[180:181], v[162:163]
	s_waitcnt vmcnt(2) lgkmcnt(0)
	v_mul_f64 v[180:181], v[186:187], v[166:167]
	v_fmac_f64_e32 v[222:223], v[182:183], v[160:161]
	v_fma_f64 v[232:233], v[184:185], v[164:165], -v[180:181]
	v_mul_f64 v[234:235], v[184:185], v[166:167]
	s_waitcnt vmcnt(1)
	v_mul_f64 v[184:185], v[178:179], v[170:171]
	ds_read_b128 v[180:183], v229 offset:57024
	v_mul_f64 v[250:251], v[176:177], v[170:171]
	v_fma_f64 v[248:249], v[176:177], v[168:169], -v[184:185]
	v_fmac_f64_e32 v[250:251], v[178:179], v[168:169]
	ds_read_b128 v[176:179], v229
	s_waitcnt vmcnt(0) lgkmcnt(1)
	v_mul_f64 v[254:255], v[180:181], v[90:91]
	v_mul_f64 v[184:185], v[182:183], v[90:91]
	v_fmac_f64_e32 v[254:255], v[182:183], v[88:89]
	ds_read_b128 v[188:191], v229 offset:5184
	s_waitcnt lgkmcnt(1)
	v_add_f64 v[182:183], v[176:177], v[192:193]
	v_fma_f64 v[252:253], v[180:181], v[88:89], -v[184:185]
	v_add_f64 v[180:181], v[192:193], v[200:201]
	v_add_f64 v[208:209], v[182:183], v[200:201]
	;; [unrolled: 1-line block ×3, first 2 shown]
	v_fmac_f64_e32 v[176:177], -0.5, v[180:181]
	v_add_f64 v[184:185], v[194:195], -v[202:203]
	v_add_f64 v[210:211], v[182:183], v[202:203]
	v_add_f64 v[182:183], v[194:195], v[202:203]
	v_fma_f64 v[180:181], s[0:1], v[184:185], v[176:177]
	v_fmac_f64_e32 v[176:177], s[14:15], v[184:185]
	v_fmac_f64_e32 v[178:179], -0.5, v[182:183]
	v_add_f64 v[184:185], v[192:193], -v[200:201]
	v_fma_f64 v[182:183], s[14:15], v[184:185], v[178:179]
	v_fmac_f64_e32 v[178:179], s[0:1], v[184:185]
	v_add_f64 v[184:185], v[204:205], v[216:217]
	v_fmac_f64_e32 v[234:235], v[186:187], v[164:165]
	s_waitcnt lgkmcnt(0)
	v_add_f64 v[186:187], v[188:189], v[204:205]
	v_fmac_f64_e32 v[188:189], -0.5, v[184:185]
	v_add_f64 v[192:193], v[206:207], -v[218:219]
	v_fma_f64 v[184:185], s[0:1], v[192:193], v[188:189]
	v_fmac_f64_e32 v[188:189], s[14:15], v[192:193]
	v_add_f64 v[192:193], v[186:187], v[216:217]
	v_add_f64 v[186:187], v[190:191], v[206:207]
	;; [unrolled: 1-line block ×4, first 2 shown]
	v_fmac_f64_e32 v[190:191], -0.5, v[186:187]
	v_add_f64 v[200:201], v[204:205], -v[216:217]
	v_add_f64 v[202:203], v[220:221], v[232:233]
	v_fma_f64 v[186:187], s[14:15], v[200:201], v[190:191]
	v_fmac_f64_e32 v[190:191], s[0:1], v[200:201]
	v_add_f64 v[200:201], v[212:213], v[220:221]
	v_fmac_f64_e32 v[212:213], -0.5, v[202:203]
	v_add_f64 v[202:203], v[222:223], -v[234:235]
	v_add_f64 v[206:207], v[222:223], v[234:235]
	v_fma_f64 v[204:205], s[0:1], v[202:203], v[212:213]
	v_fmac_f64_e32 v[212:213], s[14:15], v[202:203]
	v_add_f64 v[202:203], v[214:215], v[222:223]
	;; [unrolled: 6-line block ×3, first 2 shown]
	v_fmac_f64_e32 v[196:197], -0.5, v[218:219]
	v_add_f64 v[218:219], v[250:251], -v[254:255]
	v_add_f64 v[222:223], v[250:251], v[254:255]
	v_add_f64 v[200:201], v[200:201], v[232:233]
	v_fma_f64 v[220:221], s[0:1], v[218:219], v[196:197]
	v_fmac_f64_e32 v[196:197], s[14:15], v[218:219]
	v_add_f64 v[218:219], v[198:199], v[250:251]
	v_fmac_f64_e32 v[198:199], -0.5, v[222:223]
	v_add_f64 v[232:233], v[248:249], -v[252:253]
	v_add_f64 v[202:203], v[202:203], v[234:235]
	v_add_f64 v[216:217], v[216:217], v[252:253]
	;; [unrolled: 1-line block ×3, first 2 shown]
	v_fma_f64 v[222:223], s[14:15], v[232:233], v[198:199]
	v_fmac_f64_e32 v[198:199], s[0:1], v[232:233]
	ds_write_b128 v229, v[208:211]
	ds_write_b128 v229, v[180:183] offset:20736
	ds_write_b128 v229, v[176:179] offset:41472
	;; [unrolled: 1-line block ×11, first 2 shown]
	s_waitcnt lgkmcnt(0)
	s_barrier
	s_and_saveexec_b64 s[0:1], s[2:3]
	s_cbranch_execz .LBB0_9
; %bb.8:
	v_mov_b32_e32 v225, v231
	v_lshl_add_u64 v[230:231], s[12:13], 0, v[224:225]
	v_add_co_u32_e32 v232, vcc, 0xf000, v230
	ds_read_b128 v[248:251], v229
	s_nop 0
	v_addc_co_u32_e32 v233, vcc, 0, v231, vcc
	global_load_dwordx4 v[252:255], v[232:233], off offset:768
	s_mov_b64 s[10:11], 0xf300
	v_lshl_add_u64 v[236:237], v[230:231], 0, s[10:11]
	s_mov_b32 s10, 0x11000
	s_waitcnt vmcnt(0) lgkmcnt(0)
	v_mul_f64 v[232:233], v[250:251], v[254:255]
	v_mul_f64 v[234:235], v[248:249], v[254:255]
	v_fma_f64 v[232:233], v[248:249], v[252:253], -v[232:233]
	v_fmac_f64_e32 v[234:235], v[250:251], v[252:253]
	global_load_dwordx4 v[248:251], v[236:237], off offset:3888
	ds_write_b128 v229, v[232:235]
	ds_read_b128 v[232:235], v224 offset:3888
	s_waitcnt vmcnt(0) lgkmcnt(0)
	v_mul_f64 v[236:237], v[234:235], v[250:251]
	v_fma_f64 v[252:253], v[232:233], v[248:249], -v[236:237]
	v_add_co_u32_e32 v236, vcc, s10, v230
	v_mul_f64 v[254:255], v[232:233], v[250:251]
	s_nop 0
	v_addc_co_u32_e32 v237, vcc, 0, v231, vcc
	v_fmac_f64_e32 v[254:255], v[234:235], v[248:249]
	global_load_dwordx4 v[248:251], v[236:237], off offset:352
	ds_read_b128 v[232:235], v224 offset:7776
	s_mov_b32 s10, 0x12000
	ds_write_b128 v224, v[252:255] offset:3888
	s_waitcnt vmcnt(0) lgkmcnt(1)
	v_mul_f64 v[236:237], v[234:235], v[250:251]
	v_fma_f64 v[252:253], v[232:233], v[248:249], -v[236:237]
	v_add_co_u32_e32 v236, vcc, s10, v230
	v_mul_f64 v[254:255], v[232:233], v[250:251]
	s_nop 0
	v_addc_co_u32_e32 v237, vcc, 0, v231, vcc
	v_fmac_f64_e32 v[254:255], v[234:235], v[248:249]
	global_load_dwordx4 v[248:251], v[236:237], off offset:144
	ds_read_b128 v[232:235], v224 offset:11664
	ds_write_b128 v224, v[252:255] offset:7776
	s_mov_b32 s10, 0x13000
	s_waitcnt vmcnt(0) lgkmcnt(1)
	v_mul_f64 v[252:253], v[234:235], v[250:251]
	v_mul_f64 v[254:255], v[232:233], v[250:251]
	v_fma_f64 v[252:253], v[232:233], v[248:249], -v[252:253]
	v_fmac_f64_e32 v[254:255], v[234:235], v[248:249]
	global_load_dwordx4 v[248:251], v[236:237], off offset:4032
	ds_write_b128 v224, v[252:255] offset:11664
	ds_read_b128 v[232:235], v229 offset:15552
	s_waitcnt vmcnt(0) lgkmcnt(0)
	v_mul_f64 v[236:237], v[234:235], v[250:251]
	v_fma_f64 v[252:253], v[232:233], v[248:249], -v[236:237]
	v_add_co_u32_e32 v236, vcc, s10, v230
	v_mul_f64 v[254:255], v[232:233], v[250:251]
	s_nop 0
	v_addc_co_u32_e32 v237, vcc, 0, v231, vcc
	v_fmac_f64_e32 v[254:255], v[234:235], v[248:249]
	global_load_dwordx4 v[248:251], v[236:237], off offset:3824
	ds_write_b128 v229, v[252:255] offset:15552
	ds_read_b128 v[232:235], v224 offset:19440
	s_mov_b32 s10, 0x14000
	s_waitcnt vmcnt(0) lgkmcnt(0)
	v_mul_f64 v[236:237], v[234:235], v[250:251]
	v_fma_f64 v[252:253], v[232:233], v[248:249], -v[236:237]
	v_add_co_u32_e32 v236, vcc, s10, v230
	v_mul_f64 v[254:255], v[232:233], v[250:251]
	s_nop 0
	v_addc_co_u32_e32 v237, vcc, 0, v231, vcc
	v_fmac_f64_e32 v[254:255], v[234:235], v[248:249]
	global_load_dwordx4 v[248:251], v[236:237], off offset:3616
	ds_read_b128 v[232:235], v224 offset:23328
	s_mov_b32 s10, 0x15000
	ds_write_b128 v224, v[252:255] offset:19440
	s_waitcnt vmcnt(0) lgkmcnt(1)
	v_mul_f64 v[236:237], v[234:235], v[250:251]
	v_fma_f64 v[252:253], v[232:233], v[248:249], -v[236:237]
	v_add_co_u32_e32 v236, vcc, s10, v230
	v_mul_f64 v[254:255], v[232:233], v[250:251]
	s_nop 0
	v_addc_co_u32_e32 v237, vcc, 0, v231, vcc
	v_fmac_f64_e32 v[254:255], v[234:235], v[248:249]
	global_load_dwordx4 v[248:251], v[236:237], off offset:3408
	ds_read_b128 v[232:235], v224 offset:27216
	s_mov_b32 s10, 0x16000
	ds_write_b128 v224, v[252:255] offset:23328
	s_waitcnt vmcnt(0) lgkmcnt(1)
	v_mul_f64 v[236:237], v[234:235], v[250:251]
	v_fma_f64 v[252:253], v[232:233], v[248:249], -v[236:237]
	v_add_co_u32_e32 v236, vcc, s10, v230
	v_mul_f64 v[254:255], v[232:233], v[250:251]
	s_nop 0
	v_addc_co_u32_e32 v237, vcc, 0, v231, vcc
	v_fmac_f64_e32 v[254:255], v[234:235], v[248:249]
	global_load_dwordx4 v[248:251], v[236:237], off offset:3200
	ds_write_b128 v224, v[252:255] offset:27216
	ds_read_b128 v[232:235], v229 offset:31104
	s_mov_b32 s10, 0x17000
	s_waitcnt vmcnt(0) lgkmcnt(0)
	v_mul_f64 v[236:237], v[234:235], v[250:251]
	v_fma_f64 v[252:253], v[232:233], v[248:249], -v[236:237]
	v_add_co_u32_e32 v236, vcc, s10, v230
	v_mul_f64 v[254:255], v[232:233], v[250:251]
	s_nop 0
	v_addc_co_u32_e32 v237, vcc, 0, v231, vcc
	v_fmac_f64_e32 v[254:255], v[234:235], v[248:249]
	global_load_dwordx4 v[248:251], v[236:237], off offset:2992
	ds_write_b128 v229, v[252:255] offset:31104
	ds_read_b128 v[232:235], v224 offset:34992
	s_mov_b32 s10, 0x18000
	s_waitcnt vmcnt(0) lgkmcnt(0)
	v_mul_f64 v[236:237], v[234:235], v[250:251]
	v_fma_f64 v[252:253], v[232:233], v[248:249], -v[236:237]
	v_add_co_u32_e32 v236, vcc, s10, v230
	v_mul_f64 v[254:255], v[232:233], v[250:251]
	s_nop 0
	v_addc_co_u32_e32 v237, vcc, 0, v231, vcc
	v_fmac_f64_e32 v[254:255], v[234:235], v[248:249]
	global_load_dwordx4 v[248:251], v[236:237], off offset:2784
	ds_read_b128 v[232:235], v224 offset:38880
	s_mov_b32 s10, 0x19000
	ds_write_b128 v224, v[252:255] offset:34992
	s_waitcnt vmcnt(0) lgkmcnt(1)
	v_mul_f64 v[236:237], v[234:235], v[250:251]
	v_fma_f64 v[252:253], v[232:233], v[248:249], -v[236:237]
	v_add_co_u32_e32 v236, vcc, s10, v230
	v_mul_f64 v[254:255], v[232:233], v[250:251]
	s_nop 0
	v_addc_co_u32_e32 v237, vcc, 0, v231, vcc
	v_fmac_f64_e32 v[254:255], v[234:235], v[248:249]
	global_load_dwordx4 v[248:251], v[236:237], off offset:2576
	ds_read_b128 v[232:235], v224 offset:42768
	s_mov_b32 s10, 0x1a000
	ds_write_b128 v224, v[252:255] offset:38880
	s_waitcnt vmcnt(0) lgkmcnt(1)
	v_mul_f64 v[236:237], v[234:235], v[250:251]
	v_fma_f64 v[252:253], v[232:233], v[248:249], -v[236:237]
	v_add_co_u32_e32 v236, vcc, s10, v230
	v_mul_f64 v[254:255], v[232:233], v[250:251]
	s_nop 0
	v_addc_co_u32_e32 v237, vcc, 0, v231, vcc
	v_fmac_f64_e32 v[254:255], v[234:235], v[248:249]
	global_load_dwordx4 v[248:251], v[236:237], off offset:2368
	ds_write_b128 v224, v[252:255] offset:42768
	ds_read_b128 v[232:235], v229 offset:46656
	s_mov_b32 s10, 0x1b000
	s_waitcnt vmcnt(0) lgkmcnt(0)
	v_mul_f64 v[236:237], v[234:235], v[250:251]
	v_fma_f64 v[252:253], v[232:233], v[248:249], -v[236:237]
	v_add_co_u32_e32 v236, vcc, s10, v230
	v_mul_f64 v[254:255], v[232:233], v[250:251]
	s_nop 0
	v_addc_co_u32_e32 v237, vcc, 0, v231, vcc
	v_fmac_f64_e32 v[254:255], v[234:235], v[248:249]
	global_load_dwordx4 v[248:251], v[236:237], off offset:2160
	ds_write_b128 v229, v[252:255] offset:46656
	ds_read_b128 v[232:235], v224 offset:50544
	s_mov_b32 s10, 0x1c000
	s_waitcnt vmcnt(0) lgkmcnt(0)
	v_mul_f64 v[236:237], v[234:235], v[250:251]
	v_fma_f64 v[252:253], v[232:233], v[248:249], -v[236:237]
	v_add_co_u32_e32 v236, vcc, s10, v230
	v_mul_f64 v[254:255], v[232:233], v[250:251]
	s_nop 0
	v_addc_co_u32_e32 v237, vcc, 0, v231, vcc
	v_fmac_f64_e32 v[254:255], v[234:235], v[248:249]
	global_load_dwordx4 v[248:251], v[236:237], off offset:1952
	ds_read_b128 v[232:235], v224 offset:54432
	s_mov_b32 s10, 0x1d000
	v_add_co_u32_e32 v230, vcc, s10, v230
	ds_write_b128 v224, v[252:255] offset:50544
	s_nop 0
	v_addc_co_u32_e32 v231, vcc, 0, v231, vcc
	s_waitcnt vmcnt(0) lgkmcnt(1)
	v_mul_f64 v[236:237], v[234:235], v[250:251]
	v_mul_f64 v[254:255], v[232:233], v[250:251]
	v_fma_f64 v[252:253], v[232:233], v[248:249], -v[236:237]
	v_fmac_f64_e32 v[254:255], v[234:235], v[248:249]
	global_load_dwordx4 v[248:251], v[230:231], off offset:1744
	ds_read_b128 v[232:235], v224 offset:58320
	ds_write_b128 v224, v[252:255] offset:54432
	s_waitcnt vmcnt(0) lgkmcnt(1)
	v_mul_f64 v[230:231], v[234:235], v[250:251]
	v_fma_f64 v[230:231], v[232:233], v[248:249], -v[230:231]
	v_mul_f64 v[232:233], v[232:233], v[250:251]
	v_fmac_f64_e32 v[232:233], v[234:235], v[248:249]
	ds_write_b128 v224, v[230:233] offset:58320
.LBB0_9:
	s_or_b64 exec, exec, s[0:1]
	s_waitcnt lgkmcnt(0)
	s_barrier
	s_and_saveexec_b64 s[0:1], s[2:3]
	s_cbranch_execz .LBB0_11
; %bb.10:
	ds_read_b128 v[180:183], v229 offset:3888
	ds_read_b128 v[176:179], v229 offset:7776
	;; [unrolled: 1-line block ×14, first 2 shown]
	ds_read_b128 v[208:211], v229
	ds_read_b128 v[76:79], v229 offset:58320
.LBB0_11:
	s_or_b64 exec, exec, s[0:1]
	s_waitcnt lgkmcnt(0)
	s_barrier
	s_and_saveexec_b64 s[0:1], s[2:3]
	s_cbranch_execz .LBB0_13
; %bb.12:
	v_mov_b64_e32 v[174:175], v[162:163]
	v_mov_b64_e32 v[172:173], v[160:161]
	;; [unrolled: 1-line block ×5, first 2 shown]
	scratch_store_dwordx4 off, v[168:171], off offset:144 ; 16-byte Folded Spill
	v_mov_b64_e32 v[148:149], v[136:137]
	v_mov_b64_e32 v[138:139], v[126:127]
	;; [unrolled: 1-line block ×17, first 2 shown]
	scratch_store_dword off, v118, off offset:128 ; 4-byte Folded Spill
	scratch_store_dword off, v119, off offset:132 ; 4-byte Folded Spill
	;; [unrolled: 1-line block ×4, first 2 shown]
	v_mov_b64_e32 v[118:119], v[96:97]
	v_add_f64 v[222:223], v[178:179], -v[222:223]
	v_add_f64 v[230:231], v[200:201], -v[72:73]
	;; [unrolled: 1-line block ×4, first 2 shown]
	s_mov_b32 s10, 0x667f3bcd
	v_add_f64 v[248:249], v[202:203], -v[74:75]
	v_add_f64 v[220:221], v[176:177], -v[220:221]
	;; [unrolled: 1-line block ×6, first 2 shown]
	v_mov_b64_e32 v[86:87], v[244:245]
	v_mov_b64_e32 v[120:121], v[108:109]
	;; [unrolled: 1-line block ×5, first 2 shown]
	v_add_f64 v[78:79], v[206:207], -v[78:79]
	v_add_f64 v[196:197], v[192:193], -v[196:197]
	;; [unrolled: 1-line block ×8, first 2 shown]
	s_mov_b32 s11, 0x3fe6a09e
	v_add_f64 v[250:251], v[248:249], v[220:221]
	v_add_f64 v[252:253], v[198:199], -v[76:77]
	v_mov_b64_e32 v[110:111], v[240:241]
	v_mov_b64_e32 v[92:93], v[64:65]
	v_add_f64 v[238:239], v[218:219], -v[254:255]
	v_mov_b64_e32 v[66:67], v[26:27]
	v_add_f64 v[242:243], v[78:79], v[196:197]
	v_mov_b32_e32 v96, v246
	v_add_f64 v[246:247], v[244:245], v[216:217]
	v_add_f64 v[0:1], v[212:213], v[42:43]
	v_fma_f64 v[236:237], s[10:11], v[232:233], v[234:235]
	s_mov_b32 s15, 0xbfe6a09e
	s_mov_b32 s14, s10
	v_fma_f64 v[240:241], s[10:11], v[252:253], v[238:239]
	v_mov_b64_e32 v[64:65], v[24:25]
	s_mov_b32 s20, 0xcf328d46
	v_mov_b32_e32 v24, v226
	v_mov_b32_e32 v25, v227
	v_fma_f64 v[226:227], s[10:11], v[242:243], v[246:247]
	v_fma_f64 v[2:3], s[10:11], v[250:251], v[0:1]
	v_fmac_f64_e32 v[236:237], s[14:15], v[250:251]
	v_fmac_f64_e32 v[240:241], s[14:15], v[242:243]
	s_mov_b32 s21, 0x3fed906b
	v_fmac_f64_e32 v[226:227], s[10:11], v[252:253]
	s_mov_b32 s16, 0xa6aea964
	v_fmac_f64_e32 v[2:3], s[10:11], v[232:233]
	v_fma_f64 v[74:75], s[20:21], v[240:241], v[236:237]
	s_mov_b32 s17, 0xbfd87de2
	v_fma_f64 v[72:73], s[20:21], v[226:227], v[2:3]
	s_mov_b32 s19, 0x3fd87de2
	s_mov_b32 s18, s16
	v_fmac_f64_e32 v[74:75], s[16:17], v[226:227]
	v_fmac_f64_e32 v[72:73], s[18:19], v[240:241]
	v_fma_f64 v[6:7], v[236:237], 2.0, -v[74:75]
	v_fma_f64 v[4:5], v[2:3], 2.0, -v[72:73]
	v_fma_f64 v[210:211], v[210:211], 2.0, -v[214:215]
	v_fma_f64 v[42:43], v[186:187], 2.0, -v[42:43]
	scratch_store_dword off, v106, off offset:120 ; 4-byte Folded Spill
	scratch_store_dword off, v58, off offset:124 ; 4-byte Folded Spill
	scratch_store_dwordx4 off, v[4:7], off offset:160 ; 16-byte Folded Spill
	v_mov_b64_e32 v[58:59], v[30:31]
	v_fma_f64 v[186:187], v[192:193], 2.0, -v[196:197]
	v_add_f64 v[4:5], v[210:211], -v[42:43]
	v_fma_f64 v[6:7], v[176:177], 2.0, -v[220:221]
	v_fma_f64 v[42:43], v[200:201], 2.0, -v[230:231]
	v_add_f64 v[200:201], v[6:7], -v[42:43]
	v_fma_f64 v[42:43], v[204:205], 2.0, -v[76:77]
	v_fma_f64 v[192:193], v[194:195], 2.0, -v[198:199]
	;; [unrolled: 1-line block ×3, first 2 shown]
	v_mov_b64_e32 v[56:57], v[28:29]
	v_mov_b64_e32 v[32:33], v[10:11]
	v_add_f64 v[194:195], v[192:193], -v[76:77]
	v_fma_f64 v[206:207], v[180:181], 2.0, -v[216:217]
	v_fma_f64 v[76:77], v[188:189], 2.0, -v[254:255]
	v_mov_b64_e32 v[30:31], v[8:9]
	v_fma_f64 v[8:9], v[182:183], 2.0, -v[218:219]
	v_fma_f64 v[10:11], v[190:191], 2.0, -v[244:245]
	v_add_f64 v[244:245], v[206:207], -v[76:77]
	v_fma_f64 v[188:189], v[178:179], 2.0, -v[222:223]
	v_fma_f64 v[76:77], v[202:203], 2.0, -v[248:249]
	;; [unrolled: 1-line block ×4, first 2 shown]
	v_add_f64 v[202:203], v[188:189], -v[76:77]
	v_fma_f64 v[40:41], v[184:185], 2.0, -v[40:41]
	v_fma_f64 v[180:181], v[220:221], 2.0, -v[250:251]
	v_fma_f64 v[220:221], s[14:15], v[182:183], v[218:219]
	v_fma_f64 v[184:185], v[196:197], 2.0, -v[242:243]
	v_fma_f64 v[216:217], v[216:217], 2.0, -v[246:247]
	v_mov_b32_e32 v51, v70
	v_mov_b32_e32 v97, v71
	v_mov_b64_e32 v[70:71], v[38:39]
	v_add_f64 v[190:191], v[186:187], -v[42:43]
	v_fma_f64 v[176:177], v[222:223], 2.0, -v[232:233]
	v_fmac_f64_e32 v[220:221], s[14:15], v[184:185]
	v_fma_f64 v[222:223], s[14:15], v[184:185], v[216:217]
	v_fma_f64 v[242:243], v[210:211], 2.0, -v[4:5]
	v_fma_f64 v[184:185], v[188:189], 2.0, -v[202:203]
	v_mov_b64_e32 v[68:69], v[36:37]
	v_mov_b32_e32 v225, v35
	v_mov_b64_e32 v[36:37], v[22:23]
	v_add_f64 v[250:251], v[242:243], -v[184:185]
	v_fma_f64 v[252:253], v[206:207], 2.0, -v[244:245]
	v_fma_f64 v[184:185], v[186:187], 2.0, -v[190:191]
	v_mov_b64_e32 v[34:35], v[20:21]
	v_fma_f64 v[22:23], v[234:235], 2.0, -v[236:237]
	v_fma_f64 v[196:197], v[238:239], 2.0, -v[240:241]
	v_add_f64 v[254:255], v[194:195], v[244:245]
	v_fma_f64 v[208:209], v[208:209], 2.0, -v[212:213]
	s_mov_b32 s23, 0xbfed906b
	s_mov_b32 s22, s20
	v_fma_f64 v[212:213], v[212:213], 2.0, -v[0:1]
	v_add_f64 v[38:39], v[252:253], -v[184:185]
	v_fma_f64 v[184:185], v[192:193], 2.0, -v[194:195]
	v_fma_f64 v[194:195], s[16:17], v[196:197], v[22:23]
	v_fma_f64 v[192:193], v[246:247], 2.0, -v[226:227]
	v_fma_f64 v[0:1], v[0:1], 2.0, -v[2:3]
	v_add_f64 v[10:11], v[8:9], -v[10:11]
	v_fmac_f64_e32 v[194:195], s[22:23], v[192:193]
	v_fma_f64 v[192:193], s[16:17], v[192:193], v[0:1]
	v_add_f64 v[230:231], v[4:5], -v[200:201]
	v_add_f64 v[204:205], v[10:11], -v[190:191]
	v_fmac_f64_e32 v[192:193], s[20:21], v[196:197]
	v_add_f64 v[248:249], v[208:209], -v[40:41]
	v_mov_b64_e32 v[28:29], v[14:15]
	v_fma_f64 v[196:197], v[0:1], 2.0, -v[192:193]
	v_fma_f64 v[0:1], v[4:5], 2.0, -v[230:231]
	;; [unrolled: 1-line block ×3, first 2 shown]
	v_mov_b64_e32 v[26:27], v[12:13]
	v_add_f64 v[12:13], v[248:249], v[202:203]
	v_fma_f64 v[202:203], s[14:15], v[2:3], v[0:1]
	v_fma_f64 v[4:5], v[244:245], 2.0, -v[254:255]
	v_fmac_f64_e32 v[202:203], s[14:15], v[4:5]
	v_fma_f64 v[14:15], v[214:215], 2.0, -v[234:235]
	v_fma_f64 v[206:207], v[0:1], 2.0, -v[202:203]
	;; [unrolled: 1-line block ×3, first 2 shown]
	v_fma_f64 v[214:215], s[14:15], v[176:177], v[14:15]
	v_fma_f64 v[6:7], v[6:7], 2.0, -v[200:201]
	v_fma_f64 v[200:201], s[14:15], v[4:5], v[0:1]
	v_fma_f64 v[40:41], s[10:11], v[254:255], v[12:13]
	v_fmac_f64_e32 v[214:215], s[14:15], v[180:181]
	v_fmac_f64_e32 v[200:201], s[10:11], v[2:3]
	v_mov_b64_e32 v[52:53], v[112:113]
	v_fma_f64 v[42:43], s[10:11], v[204:205], v[230:231]
	v_fmac_f64_e32 v[40:41], s[10:11], v[204:205]
	v_fmac_f64_e32 v[222:223], s[10:11], v[182:183]
	v_fma_f64 v[204:205], v[0:1], 2.0, -v[200:201]
	v_fma_f64 v[0:1], v[14:15], 2.0, -v[214:215]
	;; [unrolled: 1-line block ×3, first 2 shown]
	v_mov_b64_e32 v[54:55], v[114:115]
	v_mov_b64_e32 v[114:115], v[100:101]
	v_fma_f64 v[178:179], s[18:19], v[220:221], v[214:215]
	v_fma_f64 v[232:233], s[14:15], v[180:181], v[212:213]
	;; [unrolled: 1-line block ×3, first 2 shown]
	v_fma_f64 v[4:5], v[216:217], 2.0, -v[222:223]
	v_mov_b64_e32 v[112:113], v[98:99]
	v_mov_b64_e32 v[100:101], v[82:83]
	v_fmac_f64_e32 v[178:179], s[22:23], v[222:223]
	v_fmac_f64_e32 v[232:233], s[10:11], v[176:177]
	;; [unrolled: 1-line block ×3, first 2 shown]
	v_mov_b64_e32 v[98:99], v[80:81]
	v_mov_b64_e32 v[82:83], v[46:47]
	v_fma_f64 v[182:183], v[214:215], 2.0, -v[178:179]
	v_fma_f64 v[214:215], v[0:1], 2.0, -v[210:211]
	;; [unrolled: 1-line block ×3, first 2 shown]
	v_mov_b64_e32 v[80:81], v[44:45]
	v_fma_f64 v[44:45], v[208:209], 2.0, -v[248:249]
	v_fma_f64 v[8:9], v[8:9], 2.0, -v[10:11]
	v_fma_f64 v[208:209], s[22:23], v[4:5], v[0:1]
	v_mov_b64_e32 v[240:241], v[110:111]
	v_add_f64 v[20:21], v[8:9], -v[184:185]
	v_fmac_f64_e32 v[208:209], s[18:19], v[2:3]
	v_mov_b64_e32 v[238:239], v[108:109]
	v_mov_b64_e32 v[108:109], v[120:121]
	v_fma_f64 v[76:77], v[12:13], 2.0, -v[40:41]
	v_add_f64 v[6:7], v[44:45], -v[6:7]
	v_mov_b64_e32 v[12:13], v[26:27]
	v_fma_f64 v[212:213], v[0:1], 2.0, -v[208:209]
	v_fma_f64 v[0:1], v[242:243], 2.0, -v[250:251]
	;; [unrolled: 1-line block ×3, first 2 shown]
	v_mov_b64_e32 v[110:111], v[122:123]
	v_mov_b64_e32 v[120:121], v[132:133]
	v_add_f64 v[184:185], v[6:7], v[20:21]
	v_mov_b32_e32 v227, v25
	v_mov_b32_e32 v226, v24
	v_fma_f64 v[198:199], v[22:23], 2.0, -v[194:195]
	v_mov_b64_e32 v[14:15], v[28:29]
	v_mov_b64_e32 v[24:25], v[64:65]
	;; [unrolled: 1-line block ×3, first 2 shown]
	v_add_f64 v[218:219], v[0:1], -v[2:3]
	v_mov_b64_e32 v[122:123], v[134:135]
	v_mov_b64_e32 v[132:133], v[144:145]
	v_fma_f64 v[176:177], s[18:19], v[222:223], v[232:233]
	v_add_f64 v[186:187], v[250:251], -v[38:39]
	v_mov_b64_e32 v[26:27], v[66:67]
	v_mov_b64_e32 v[64:65], v[92:93]
	;; [unrolled: 1-line block ×4, first 2 shown]
	v_fma_f64 v[222:223], v[0:1], 2.0, -v[218:219]
	v_fma_f64 v[0:1], v[44:45], 2.0, -v[6:7]
	;; [unrolled: 1-line block ×3, first 2 shown]
	v_mov_b64_e32 v[36:37], v[68:69]
	v_mov_b64_e32 v[134:135], v[146:147]
	;; [unrolled: 1-line block ×3, first 2 shown]
	v_mov_b32_e32 v106, v107
	v_mov_b32_e32 v246, v96
	v_mov_b64_e32 v[66:67], v[94:95]
	v_mov_b64_e32 v[10:11], v[32:33]
	;; [unrolled: 1-line block ×4, first 2 shown]
	v_mov_b32_e32 v71, v97
	v_mov_b64_e32 v[94:95], v[116:117]
	v_mov_b64_e32 v[146:147], v[158:159]
	;; [unrolled: 1-line block ×3, first 2 shown]
	v_add_f64 v[216:217], v[0:1], -v[2:3]
	v_fmac_f64_e32 v[176:177], s[20:21], v[220:221]
	v_mov_b64_e32 v[30:31], v[58:59]
	v_mov_b64_e32 v[96:97], v[118:119]
	scratch_load_dword v117, off, off offset:140 ; 4-byte Folded Reload
	scratch_load_dword v116, off, off offset:136 ; 4-byte Folded Reload
	;; [unrolled: 1-line block ×4, first 2 shown]
	v_mov_b32_e32 v107, v106
	v_mov_b64_e32 v[158:159], v[170:171]
	scratch_load_dwordx4 v[168:171], off, off offset:144 ; 16-byte Folded Reload
	scratch_load_dword v58, off, off offset:124 ; 4-byte Folded Reload
	scratch_load_dword v106, off, off offset:120 ; 4-byte Folded Reload
	v_fma_f64 v[220:221], v[0:1], 2.0, -v[216:217]
	scratch_load_dword v0, off, off offset:116 ; 4-byte Folded Reload
	v_fmac_f64_e32 v[42:43], s[14:15], v[254:255]
	v_fma_f64 v[78:79], v[230:231], 2.0, -v[42:43]
	v_fma_f64 v[180:181], v[232:233], 2.0, -v[176:177]
	;; [unrolled: 1-line block ×4, first 2 shown]
	v_mov_b64_e32 v[244:245], v[86:87]
	v_mov_b64_e32 v[242:243], v[84:85]
	;; [unrolled: 1-line block ×20, first 2 shown]
	v_mov_b32_e32 v35, v225
	v_mov_b64_e32 v[162:163], v[174:175]
	v_mov_b64_e32 v[112:113], v[52:53]
	v_mov_b32_e32 v70, v51
	s_waitcnt vmcnt(0)
	v_lshlrev_b32_e32 v0, 4, v0
	ds_write_b128 v0, v[220:223]
	ds_write_b128 v0, v[212:215] offset:16
	ds_write_b128 v0, v[204:207] offset:32
	;; [unrolled: 1-line block ×6, first 2 shown]
	scratch_load_dwordx4 v[2:5], off, off offset:160 ; 16-byte Folded Reload
	s_waitcnt vmcnt(0)
	ds_write_b128 v0, v[2:5] offset:112
	ds_write_b128 v0, v[216:219] offset:128
	ds_write_b128 v0, v[208:211] offset:144
	ds_write_b128 v0, v[200:203] offset:160
	ds_write_b128 v0, v[192:195] offset:176
	ds_write_b128 v0, v[184:187] offset:192
	ds_write_b128 v0, v[176:179] offset:208
	ds_write_b128 v0, v[40:43] offset:224
	ds_write_b128 v0, v[72:75] offset:240
.LBB0_13:
	s_or_b64 exec, exec, s[0:1]
	s_waitcnt lgkmcnt(0)
	s_barrier
	ds_read_b128 v[40:43], v229 offset:5184
	ds_read_b128 v[52:55], v229 offset:10368
	;; [unrolled: 1-line block ×10, first 2 shown]
	ds_read_b128 v[200:203], v229
	ds_read_b128 v[204:207], v229 offset:57024
	scratch_load_dwordx4 v[2:5], off, off offset:100 ; 16-byte Folded Reload
	s_waitcnt lgkmcnt(5)
	v_mul_f64 v[6:7], v[10:11], v[190:191]
	v_mul_f64 v[0:1], v[10:11], v[188:189]
	v_fmac_f64_e32 v[6:7], v[8:9], v[188:189]
	v_fma_f64 v[8:9], v[8:9], v[190:191], -v[0:1]
	s_waitcnt lgkmcnt(3)
	v_mul_f64 v[10:11], v[14:15], v[194:195]
	v_mul_f64 v[0:1], v[14:15], v[192:193]
	v_fmac_f64_e32 v[10:11], v[12:13], v[192:193]
	v_fma_f64 v[12:13], v[12:13], v[194:195], -v[0:1]
	v_mul_f64 v[14:15], v[18:19], v[78:79]
	v_mul_f64 v[0:1], v[18:19], v[76:77]
	v_fmac_f64_e32 v[14:15], v[16:17], v[76:77]
	v_fma_f64 v[16:17], v[16:17], v[78:79], -v[0:1]
	;; [unrolled: 4-line block ×3, first 2 shown]
	v_mul_f64 v[0:1], v[30:31], v[176:177]
	v_mul_f64 v[22:23], v[30:31], v[178:179]
	v_fma_f64 v[76:77], v[28:29], v[178:179], -v[0:1]
	v_fmac_f64_e32 v[22:23], v[28:29], v[176:177]
	s_mov_b32 s0, 0xe8584caa
	s_mov_b32 s1, 0xbfebb67a
	;; [unrolled: 1-line block ×4, first 2 shown]
	s_waitcnt lgkmcnt(2)
	v_mul_f64 v[178:179], v[26:27], v[198:199]
	v_fmac_f64_e32 v[178:179], v[24:25], v[196:197]
	s_waitcnt vmcnt(0)
	v_mul_f64 v[78:79], v[4:5], v[186:187]
	v_mul_f64 v[0:1], v[4:5], v[184:185]
	v_fmac_f64_e32 v[78:79], v[2:3], v[184:185]
	v_fma_f64 v[176:177], v[2:3], v[186:187], -v[0:1]
	scratch_load_dwordx4 v[2:5], off, off offset:84 ; 16-byte Folded Reload
	s_waitcnt lgkmcnt(0)
	s_barrier
	scratch_load_dword v32, off, off        ; 4-byte Folded Reload
	v_mul_f64 v[0:1], v[26:27], v[196:197]
	v_fma_f64 v[30:31], v[24:25], v[198:199], -v[0:1]
	v_add_f64 v[24:25], v[76:77], v[176:177]
	s_waitcnt vmcnt(1)
	v_mul_f64 v[180:181], v[4:5], v[206:207]
	v_mul_f64 v[0:1], v[4:5], v[204:205]
	v_fmac_f64_e32 v[180:181], v[2:3], v[204:205]
	v_fma_f64 v[182:183], v[2:3], v[206:207], -v[0:1]
	v_add_f64 v[2:3], v[6:7], v[10:11]
	v_add_f64 v[0:1], v[200:201], v[6:7]
	v_fmac_f64_e32 v[200:201], -0.5, v[2:3]
	v_add_f64 v[2:3], v[8:9], -v[12:13]
	v_fma_f64 v[4:5], s[0:1], v[2:3], v[200:201]
	v_fmac_f64_e32 v[200:201], s[10:11], v[2:3]
	v_add_f64 v[2:3], v[202:203], v[8:9]
	v_add_f64 v[8:9], v[8:9], v[12:13]
	;; [unrolled: 1-line block ×3, first 2 shown]
	v_fmac_f64_e32 v[202:203], -0.5, v[8:9]
	v_add_f64 v[8:9], v[6:7], -v[10:11]
	v_add_f64 v[10:11], v[14:15], v[18:19]
	v_fma_f64 v[6:7], s[10:11], v[8:9], v[202:203]
	v_fmac_f64_e32 v[202:203], s[0:1], v[8:9]
	v_add_f64 v[8:9], v[40:41], v[14:15]
	v_fmac_f64_e32 v[40:41], -0.5, v[10:11]
	v_add_f64 v[10:11], v[16:17], -v[20:21]
	v_add_f64 v[2:3], v[2:3], v[12:13]
	v_fma_f64 v[12:13], s[0:1], v[10:11], v[40:41]
	v_fmac_f64_e32 v[40:41], s[10:11], v[10:11]
	v_add_f64 v[10:11], v[42:43], v[16:17]
	v_add_f64 v[16:17], v[16:17], v[20:21]
	;; [unrolled: 1-line block ×3, first 2 shown]
	v_fmac_f64_e32 v[42:43], -0.5, v[16:17]
	v_add_f64 v[16:17], v[14:15], -v[18:19]
	v_add_f64 v[18:19], v[22:23], v[78:79]
	v_fma_f64 v[14:15], s[10:11], v[16:17], v[42:43]
	v_fmac_f64_e32 v[42:43], s[0:1], v[16:17]
	v_add_f64 v[16:17], v[52:53], v[22:23]
	v_fmac_f64_e32 v[52:53], -0.5, v[18:19]
	v_add_f64 v[18:19], v[76:77], -v[176:177]
	v_add_f64 v[10:11], v[10:11], v[20:21]
	v_fma_f64 v[20:21], s[0:1], v[18:19], v[52:53]
	v_fmac_f64_e32 v[52:53], s[10:11], v[18:19]
	v_add_f64 v[18:19], v[54:55], v[76:77]
	;; [unrolled: 6-line block ×3, first 2 shown]
	v_fmac_f64_e32 v[72:73], -0.5, v[26:27]
	v_add_f64 v[26:27], v[30:31], -v[182:183]
	v_fma_f64 v[28:29], s[0:1], v[26:27], v[72:73]
	v_fmac_f64_e32 v[72:73], s[10:11], v[26:27]
	v_add_f64 v[26:27], v[74:75], v[30:31]
	v_add_f64 v[30:31], v[30:31], v[182:183]
	v_fmac_f64_e32 v[74:75], -0.5, v[30:31]
	v_add_f64 v[76:77], v[178:179], -v[180:181]
	v_add_f64 v[16:17], v[16:17], v[78:79]
	v_add_f64 v[18:19], v[18:19], v[176:177]
	v_add_f64 v[24:25], v[24:25], v[180:181]
	v_add_f64 v[26:27], v[26:27], v[182:183]
	v_fma_f64 v[30:31], s[10:11], v[76:77], v[74:75]
	v_fmac_f64_e32 v[74:75], s[0:1], v[76:77]
	s_waitcnt vmcnt(0)
	ds_write_b128 v32, v[0:3]
	ds_write_b128 v32, v[4:7] offset:256
	ds_write_b128 v32, v[200:203] offset:512
	ds_write_b128 v48, v[8:11]
	ds_write_b128 v48, v[12:15] offset:256
	ds_write_b128 v48, v[40:43] offset:512
	;; [unrolled: 3-line block ×4, first 2 shown]
	s_waitcnt lgkmcnt(0)
	s_barrier
	ds_read_b128 v[0:3], v229 offset:5184
	ds_read_b128 v[4:7], v229 offset:10368
	ds_read_b128 v[8:11], v229 offset:25920
	ds_read_b128 v[12:15], v229 offset:31104
	ds_read_b128 v[16:19], v229 offset:46656
	ds_read_b128 v[20:23], v229 offset:51840
	ds_read_b128 v[24:27], v229 offset:20736
	ds_read_b128 v[28:31], v229 offset:15552
	ds_read_b128 v[40:43], v229 offset:41472
	ds_read_b128 v[52:55], v229 offset:36288
	ds_read_b128 v[72:75], v229
	ds_read_b128 v[76:79], v229 offset:57024
	s_waitcnt lgkmcnt(5)
	v_mul_f64 v[176:177], v[46:47], v[26:27]
	s_waitcnt lgkmcnt(3)
	v_mul_f64 v[34:35], v[38:39], v[40:41]
	v_fmac_f64_e32 v[176:177], v[44:45], v[24:25]
	v_mul_f64 v[24:25], v[46:47], v[24:25]
	v_fma_f64 v[32:33], v[36:37], v[42:43], -v[34:35]
	v_mul_f64 v[34:35], v[62:63], v[10:11]
	v_fma_f64 v[24:25], v[44:45], v[26:27], -v[24:25]
	v_mul_f64 v[26:27], v[38:39], v[42:43]
	v_fmac_f64_e32 v[34:35], v[60:61], v[8:9]
	v_mul_f64 v[8:9], v[62:63], v[8:9]
	v_fmac_f64_e32 v[26:27], v[36:37], v[40:41]
	v_fma_f64 v[36:37], v[60:61], v[10:11], -v[8:9]
	v_mul_f64 v[38:39], v[244:245], v[18:19]
	v_mul_f64 v[8:9], v[244:245], v[16:17]
	v_fmac_f64_e32 v[38:39], v[242:243], v[16:17]
	v_fma_f64 v[40:41], v[242:243], v[18:19], -v[8:9]
	scratch_load_dwordx4 v[16:19], off, off offset:20 ; 16-byte Folded Reload
	s_waitcnt vmcnt(0)
	v_mul_f64 v[42:43], v[18:19], v[14:15]
	v_fmac_f64_e32 v[42:43], v[16:17], v[12:13]
	v_mul_f64 v[8:9], v[18:19], v[12:13]
	scratch_load_dwordx4 v[10:13], off, off offset:4 ; 16-byte Folded Reload
	v_fma_f64 v[44:45], v[16:17], v[14:15], -v[8:9]
	v_add_f64 v[14:15], v[24:25], v[32:33]
	v_add_f64 v[16:17], v[176:177], -v[26:27]
	v_add_f64 v[18:19], v[34:35], v[38:39]
	s_waitcnt vmcnt(0)
	v_mul_f64 v[46:47], v[12:13], v[22:23]
	v_mul_f64 v[8:9], v[12:13], v[20:21]
	v_fmac_f64_e32 v[46:47], v[10:11], v[20:21]
	v_fma_f64 v[48:49], v[10:11], v[22:23], -v[8:9]
	scratch_load_dwordx4 v[10:13], off, off offset:36 ; 16-byte Folded Reload
	v_add_f64 v[22:23], v[36:37], v[40:41]
	s_waitcnt lgkmcnt(0)
	s_barrier
	s_waitcnt vmcnt(0)
	v_mul_f64 v[50:51], v[12:13], v[54:55]
	v_mul_f64 v[8:9], v[12:13], v[52:53]
	v_fmac_f64_e32 v[50:51], v[10:11], v[52:53]
	v_fma_f64 v[52:53], v[10:11], v[54:55], -v[8:9]
	v_mul_f64 v[8:9], v[66:67], v[76:77]
	v_add_f64 v[10:11], v[176:177], v[26:27]
	v_fma_f64 v[56:57], v[64:65], v[78:79], -v[8:9]
	v_add_f64 v[8:9], v[72:73], v[176:177]
	v_fmac_f64_e32 v[72:73], -0.5, v[10:11]
	v_add_f64 v[10:11], v[24:25], -v[32:33]
	v_fma_f64 v[12:13], s[0:1], v[10:11], v[72:73]
	v_fmac_f64_e32 v[72:73], s[10:11], v[10:11]
	v_add_f64 v[10:11], v[74:75], v[24:25]
	v_fmac_f64_e32 v[74:75], -0.5, v[14:15]
	v_fma_f64 v[14:15], s[10:11], v[16:17], v[74:75]
	v_fmac_f64_e32 v[74:75], s[0:1], v[16:17]
	v_add_f64 v[16:17], v[0:1], v[34:35]
	v_fmac_f64_e32 v[0:1], -0.5, v[18:19]
	v_add_f64 v[18:19], v[36:37], -v[40:41]
	v_mul_f64 v[54:55], v[66:67], v[78:79]
	v_add_f64 v[8:9], v[8:9], v[26:27]
	v_fma_f64 v[20:21], s[0:1], v[18:19], v[0:1]
	v_fmac_f64_e32 v[0:1], s[10:11], v[18:19]
	v_add_f64 v[18:19], v[2:3], v[36:37]
	v_fmac_f64_e32 v[2:3], -0.5, v[22:23]
	v_add_f64 v[24:25], v[34:35], -v[38:39]
	v_add_f64 v[26:27], v[42:43], v[46:47]
	v_fmac_f64_e32 v[54:55], v[64:65], v[76:77]
	v_fma_f64 v[22:23], s[10:11], v[24:25], v[2:3]
	v_fmac_f64_e32 v[2:3], s[0:1], v[24:25]
	v_add_f64 v[24:25], v[4:5], v[42:43]
	v_fmac_f64_e32 v[4:5], -0.5, v[26:27]
	v_add_f64 v[26:27], v[44:45], -v[48:49]
	v_add_f64 v[34:35], v[44:45], v[48:49]
	v_add_f64 v[10:11], v[10:11], v[32:33]
	v_add_f64 v[16:17], v[16:17], v[38:39]
	v_fma_f64 v[32:33], s[0:1], v[26:27], v[4:5]
	v_fmac_f64_e32 v[4:5], s[10:11], v[26:27]
	v_add_f64 v[26:27], v[6:7], v[44:45]
	v_fmac_f64_e32 v[6:7], -0.5, v[34:35]
	v_add_f64 v[36:37], v[42:43], -v[46:47]
	v_add_f64 v[38:39], v[50:51], v[54:55]
	v_fma_f64 v[34:35], s[10:11], v[36:37], v[6:7]
	v_fmac_f64_e32 v[6:7], s[0:1], v[36:37]
	v_add_f64 v[36:37], v[28:29], v[50:51]
	v_fmac_f64_e32 v[28:29], -0.5, v[38:39]
	v_add_f64 v[38:39], v[52:53], -v[56:57]
	v_add_f64 v[42:43], v[52:53], v[56:57]
	v_add_f64 v[18:19], v[18:19], v[40:41]
	v_fma_f64 v[40:41], s[0:1], v[38:39], v[28:29]
	v_fmac_f64_e32 v[28:29], s[10:11], v[38:39]
	v_add_f64 v[38:39], v[30:31], v[52:53]
	v_fmac_f64_e32 v[30:31], -0.5, v[42:43]
	v_add_f64 v[44:45], v[50:51], -v[54:55]
	v_add_f64 v[24:25], v[24:25], v[46:47]
	v_add_f64 v[26:27], v[26:27], v[48:49]
	v_add_f64 v[36:37], v[36:37], v[54:55]
	v_add_f64 v[38:39], v[38:39], v[56:57]
	v_fma_f64 v[42:43], s[10:11], v[44:45], v[30:31]
	v_fmac_f64_e32 v[30:31], s[0:1], v[44:45]
	ds_write_b128 v70, v[8:11]
	ds_write_b128 v70, v[12:15] offset:768
	ds_write_b128 v70, v[72:75] offset:1536
	ds_write_b128 v71, v[16:19]
	ds_write_b128 v71, v[20:23] offset:768
	ds_write_b128 v71, v[0:3] offset:1536
	;; [unrolled: 3-line block ×4, first 2 shown]
	s_waitcnt lgkmcnt(0)
	s_barrier
	ds_read_b128 v[0:3], v229 offset:5184
	ds_read_b128 v[4:7], v229 offset:10368
	;; [unrolled: 1-line block ×10, first 2 shown]
	ds_read_b128 v[40:43], v229
	ds_read_b128 v[44:47], v229 offset:57024
	s_waitcnt lgkmcnt(5)
	v_mul_f64 v[48:49], v[86:87], v[26:27]
	v_fmac_f64_e32 v[48:49], v[84:85], v[24:25]
	v_mul_f64 v[24:25], v[86:87], v[24:25]
	v_fma_f64 v[24:25], v[84:85], v[26:27], -v[24:25]
	s_waitcnt lgkmcnt(3)
	v_mul_f64 v[26:27], v[82:83], v[34:35]
	v_fmac_f64_e32 v[26:27], v[80:81], v[32:33]
	v_mul_f64 v[32:33], v[82:83], v[32:33]
	v_fma_f64 v[32:33], v[80:81], v[34:35], -v[32:33]
	v_mul_f64 v[34:35], v[100:101], v[10:11]
	v_fmac_f64_e32 v[34:35], v[98:99], v[8:9]
	v_mul_f64 v[8:9], v[100:101], v[8:9]
	v_fma_f64 v[50:51], v[98:99], v[10:11], -v[8:9]
	v_mul_f64 v[8:9], v[240:241], v[16:17]
	v_mul_f64 v[56:57], v[110:111], v[14:15]
	v_fma_f64 v[54:55], v[238:239], v[18:19], -v[8:9]
	v_fmac_f64_e32 v[56:57], v[108:109], v[12:13]
	v_mul_f64 v[8:9], v[110:111], v[12:13]
	scratch_load_dwordx4 v[10:13], off, off offset:52 ; 16-byte Folded Reload
	v_fma_f64 v[58:59], v[108:109], v[14:15], -v[8:9]
	v_mul_f64 v[8:9], v[96:97], v[20:21]
	v_fma_f64 v[62:63], v[94:95], v[22:23], -v[8:9]
	v_mul_f64 v[52:53], v[240:241], v[18:19]
	v_fmac_f64_e32 v[52:53], v[238:239], v[16:17]
	s_waitcnt lgkmcnt(0)
	v_mul_f64 v[68:69], v[104:105], v[46:47]
	v_add_f64 v[14:15], v[24:25], v[32:33]
	v_mul_f64 v[60:61], v[96:97], v[22:23]
	v_add_f64 v[16:17], v[48:49], -v[26:27]
	v_add_f64 v[18:19], v[34:35], v[52:53]
	v_fmac_f64_e32 v[60:61], v[94:95], v[20:21]
	v_add_f64 v[22:23], v[50:51], v[54:55]
	v_fmac_f64_e32 v[68:69], v[102:103], v[44:45]
	s_barrier
	s_waitcnt vmcnt(0)
	v_mul_f64 v[64:65], v[12:13], v[38:39]
	v_mul_f64 v[8:9], v[12:13], v[36:37]
	v_fmac_f64_e32 v[64:65], v[10:11], v[36:37]
	v_fma_f64 v[66:67], v[10:11], v[38:39], -v[8:9]
	v_mul_f64 v[8:9], v[104:105], v[44:45]
	v_add_f64 v[10:11], v[48:49], v[26:27]
	v_fma_f64 v[46:47], v[102:103], v[46:47], -v[8:9]
	v_add_f64 v[8:9], v[40:41], v[48:49]
	v_fmac_f64_e32 v[40:41], -0.5, v[10:11]
	v_add_f64 v[10:11], v[24:25], -v[32:33]
	v_fma_f64 v[12:13], s[0:1], v[10:11], v[40:41]
	v_fmac_f64_e32 v[40:41], s[10:11], v[10:11]
	v_add_f64 v[10:11], v[42:43], v[24:25]
	v_fmac_f64_e32 v[42:43], -0.5, v[14:15]
	v_fma_f64 v[14:15], s[10:11], v[16:17], v[42:43]
	v_fmac_f64_e32 v[42:43], s[0:1], v[16:17]
	v_add_f64 v[16:17], v[0:1], v[34:35]
	v_fmac_f64_e32 v[0:1], -0.5, v[18:19]
	v_add_f64 v[18:19], v[50:51], -v[54:55]
	v_add_f64 v[8:9], v[8:9], v[26:27]
	v_fma_f64 v[20:21], s[0:1], v[18:19], v[0:1]
	v_fmac_f64_e32 v[0:1], s[10:11], v[18:19]
	v_add_f64 v[18:19], v[2:3], v[50:51]
	v_fmac_f64_e32 v[2:3], -0.5, v[22:23]
	v_add_f64 v[24:25], v[34:35], -v[52:53]
	v_add_f64 v[26:27], v[56:57], v[60:61]
	v_fma_f64 v[22:23], s[10:11], v[24:25], v[2:3]
	v_fmac_f64_e32 v[2:3], s[0:1], v[24:25]
	v_add_f64 v[24:25], v[4:5], v[56:57]
	v_fmac_f64_e32 v[4:5], -0.5, v[26:27]
	v_add_f64 v[26:27], v[58:59], -v[62:63]
	v_add_f64 v[34:35], v[58:59], v[62:63]
	v_add_f64 v[10:11], v[10:11], v[32:33]
	v_fma_f64 v[32:33], s[0:1], v[26:27], v[4:5]
	v_fmac_f64_e32 v[4:5], s[10:11], v[26:27]
	v_add_f64 v[26:27], v[6:7], v[58:59]
	v_fmac_f64_e32 v[6:7], -0.5, v[34:35]
	v_add_f64 v[36:37], v[56:57], -v[60:61]
	v_add_f64 v[38:39], v[64:65], v[68:69]
	v_fma_f64 v[34:35], s[10:11], v[36:37], v[6:7]
	v_fmac_f64_e32 v[6:7], s[0:1], v[36:37]
	v_add_f64 v[36:37], v[28:29], v[64:65]
	v_fmac_f64_e32 v[28:29], -0.5, v[38:39]
	v_add_f64 v[38:39], v[66:67], -v[46:47]
	v_fma_f64 v[44:45], s[0:1], v[38:39], v[28:29]
	v_fmac_f64_e32 v[28:29], s[10:11], v[38:39]
	v_add_f64 v[38:39], v[30:31], v[66:67]
	v_add_f64 v[38:39], v[38:39], v[46:47]
	;; [unrolled: 1-line block ×3, first 2 shown]
	v_fmac_f64_e32 v[30:31], -0.5, v[46:47]
	v_add_f64 v[48:49], v[64:65], -v[68:69]
	v_add_f64 v[16:17], v[16:17], v[52:53]
	v_add_f64 v[18:19], v[18:19], v[54:55]
	;; [unrolled: 1-line block ×5, first 2 shown]
	v_fma_f64 v[46:47], s[10:11], v[48:49], v[30:31]
	v_fmac_f64_e32 v[30:31], s[0:1], v[48:49]
	ds_write_b128 v228, v[8:11]
	ds_write_b128 v228, v[12:15] offset:2304
	ds_write_b128 v228, v[40:43] offset:4608
	ds_write_b128 v107, v[16:19]
	ds_write_b128 v107, v[20:23] offset:2304
	ds_write_b128 v107, v[0:3] offset:4608
	;; [unrolled: 3-line block ×4, first 2 shown]
	s_waitcnt lgkmcnt(0)
	s_barrier
	ds_read_b128 v[0:3], v229 offset:5184
	ds_read_b128 v[4:7], v229 offset:10368
	ds_read_b128 v[8:11], v229 offset:25920
	ds_read_b128 v[12:15], v229 offset:31104
	ds_read_b128 v[16:19], v229 offset:46656
	ds_read_b128 v[20:23], v229 offset:51840
	ds_read_b128 v[24:27], v229 offset:20736
	ds_read_b128 v[28:31], v229 offset:15552
	ds_read_b128 v[32:35], v229 offset:41472
	ds_read_b128 v[36:39], v229 offset:36288
	ds_read_b128 v[40:43], v229
	ds_read_b128 v[44:47], v229 offset:57024
	scratch_load_dwordx4 v[50:53], off, off offset:68 ; 16-byte Folded Reload
	s_waitcnt lgkmcnt(5)
	v_mul_f64 v[48:49], v[114:115], v[26:27]
	v_fmac_f64_e32 v[48:49], v[112:113], v[24:25]
	v_mul_f64 v[24:25], v[114:115], v[24:25]
	v_fma_f64 v[24:25], v[112:113], v[26:27], -v[24:25]
	v_mul_f64 v[56:57], v[130:131], v[14:15]
	s_waitcnt lgkmcnt(0)
	v_mul_f64 v[68:69], v[142:143], v[46:47]
	v_fmac_f64_e32 v[56:57], v[128:129], v[12:13]
	v_mul_f64 v[60:61], v[134:135], v[22:23]
	v_fmac_f64_e32 v[60:61], v[132:133], v[20:21]
	;; [unrolled: 2-line block ×3, first 2 shown]
	v_fmac_f64_e32 v[68:69], v[140:141], v[44:45]
	s_barrier
	s_waitcnt vmcnt(0)
	v_mul_f64 v[26:27], v[52:53], v[34:35]
	v_fmac_f64_e32 v[26:27], v[50:51], v[32:33]
	v_mul_f64 v[32:33], v[52:53], v[32:33]
	v_fma_f64 v[32:33], v[50:51], v[34:35], -v[32:33]
	v_mul_f64 v[34:35], v[122:123], v[10:11]
	v_fmac_f64_e32 v[34:35], v[120:121], v[8:9]
	v_mul_f64 v[8:9], v[122:123], v[8:9]
	v_fma_f64 v[50:51], v[120:121], v[10:11], -v[8:9]
	v_mul_f64 v[8:9], v[126:127], v[16:17]
	v_fma_f64 v[54:55], v[124:125], v[18:19], -v[8:9]
	;; [unrolled: 2-line block ×4, first 2 shown]
	v_mul_f64 v[8:9], v[138:139], v[36:37]
	v_mul_f64 v[52:53], v[126:127], v[18:19]
	v_fma_f64 v[66:67], v[136:137], v[38:39], -v[8:9]
	v_mul_f64 v[8:9], v[142:143], v[44:45]
	v_add_f64 v[10:11], v[48:49], v[26:27]
	v_fmac_f64_e32 v[52:53], v[124:125], v[16:17]
	v_fma_f64 v[46:47], v[140:141], v[46:47], -v[8:9]
	v_add_f64 v[8:9], v[40:41], v[48:49]
	v_fmac_f64_e32 v[40:41], -0.5, v[10:11]
	v_add_f64 v[10:11], v[24:25], -v[32:33]
	v_add_f64 v[14:15], v[24:25], v[32:33]
	v_fma_f64 v[12:13], s[0:1], v[10:11], v[40:41]
	v_fmac_f64_e32 v[40:41], s[10:11], v[10:11]
	v_add_f64 v[10:11], v[42:43], v[24:25]
	v_fmac_f64_e32 v[42:43], -0.5, v[14:15]
	v_add_f64 v[16:17], v[48:49], -v[26:27]
	v_add_f64 v[18:19], v[34:35], v[52:53]
	v_fma_f64 v[14:15], s[10:11], v[16:17], v[42:43]
	v_fmac_f64_e32 v[42:43], s[0:1], v[16:17]
	v_add_f64 v[16:17], v[0:1], v[34:35]
	v_fmac_f64_e32 v[0:1], -0.5, v[18:19]
	v_add_f64 v[18:19], v[50:51], -v[54:55]
	v_add_f64 v[22:23], v[50:51], v[54:55]
	v_add_f64 v[8:9], v[8:9], v[26:27]
	v_fma_f64 v[20:21], s[0:1], v[18:19], v[0:1]
	v_fmac_f64_e32 v[0:1], s[10:11], v[18:19]
	v_add_f64 v[18:19], v[2:3], v[50:51]
	v_fmac_f64_e32 v[2:3], -0.5, v[22:23]
	v_add_f64 v[24:25], v[34:35], -v[52:53]
	v_add_f64 v[26:27], v[56:57], v[60:61]
	v_fma_f64 v[22:23], s[10:11], v[24:25], v[2:3]
	v_fmac_f64_e32 v[2:3], s[0:1], v[24:25]
	v_add_f64 v[24:25], v[4:5], v[56:57]
	v_fmac_f64_e32 v[4:5], -0.5, v[26:27]
	v_add_f64 v[26:27], v[58:59], -v[62:63]
	v_add_f64 v[34:35], v[58:59], v[62:63]
	v_add_f64 v[10:11], v[10:11], v[32:33]
	v_fma_f64 v[32:33], s[0:1], v[26:27], v[4:5]
	v_fmac_f64_e32 v[4:5], s[10:11], v[26:27]
	v_add_f64 v[26:27], v[6:7], v[58:59]
	v_fmac_f64_e32 v[6:7], -0.5, v[34:35]
	v_add_f64 v[36:37], v[56:57], -v[60:61]
	v_add_f64 v[38:39], v[64:65], v[68:69]
	v_fma_f64 v[34:35], s[10:11], v[36:37], v[6:7]
	v_fmac_f64_e32 v[6:7], s[0:1], v[36:37]
	v_add_f64 v[36:37], v[28:29], v[64:65]
	v_fmac_f64_e32 v[28:29], -0.5, v[38:39]
	v_add_f64 v[38:39], v[66:67], -v[46:47]
	v_fma_f64 v[44:45], s[0:1], v[38:39], v[28:29]
	v_fmac_f64_e32 v[28:29], s[10:11], v[38:39]
	v_add_f64 v[38:39], v[30:31], v[66:67]
	v_add_f64 v[38:39], v[38:39], v[46:47]
	;; [unrolled: 1-line block ×3, first 2 shown]
	v_fmac_f64_e32 v[30:31], -0.5, v[46:47]
	v_add_f64 v[48:49], v[64:65], -v[68:69]
	v_add_f64 v[16:17], v[16:17], v[52:53]
	v_add_f64 v[18:19], v[18:19], v[54:55]
	;; [unrolled: 1-line block ×5, first 2 shown]
	v_fma_f64 v[46:47], s[10:11], v[48:49], v[30:31]
	v_fmac_f64_e32 v[30:31], s[0:1], v[48:49]
	ds_write_b128 v229, v[8:11]
	ds_write_b128 v229, v[12:15] offset:6912
	ds_write_b128 v229, v[40:43] offset:13824
	ds_write_b128 v116, v[16:19]
	ds_write_b128 v116, v[20:23] offset:6912
	ds_write_b128 v116, v[0:3] offset:13824
	;; [unrolled: 3-line block ×3, first 2 shown]
	ds_write_b128 v227, v[36:39] offset:41472
	ds_write_b128 v227, v[44:47] offset:48384
	ds_write_b128 v227, v[28:31] offset:55296
	s_waitcnt lgkmcnt(0)
	s_barrier
	ds_read_b128 v[0:3], v229 offset:5184
	ds_read_b128 v[4:7], v229 offset:10368
	;; [unrolled: 1-line block ×10, first 2 shown]
	ds_read_b128 v[40:43], v229
	ds_read_b128 v[44:47], v229 offset:57024
	s_waitcnt lgkmcnt(5)
	v_mul_f64 v[48:49], v[146:147], v[26:27]
	v_fmac_f64_e32 v[48:49], v[144:145], v[24:25]
	v_mul_f64 v[24:25], v[146:147], v[24:25]
	v_fma_f64 v[24:25], v[144:145], v[26:27], -v[24:25]
	s_waitcnt lgkmcnt(3)
	v_mul_f64 v[26:27], v[150:151], v[34:35]
	v_fmac_f64_e32 v[26:27], v[148:149], v[32:33]
	v_mul_f64 v[32:33], v[150:151], v[32:33]
	v_fma_f64 v[32:33], v[148:149], v[34:35], -v[32:33]
	v_mul_f64 v[34:35], v[154:155], v[10:11]
	v_fmac_f64_e32 v[34:35], v[152:153], v[8:9]
	v_mul_f64 v[8:9], v[154:155], v[8:9]
	v_fma_f64 v[50:51], v[152:153], v[10:11], -v[8:9]
	v_mul_f64 v[8:9], v[158:159], v[16:17]
	v_fma_f64 v[54:55], v[156:157], v[18:19], -v[8:9]
	v_mul_f64 v[8:9], v[162:163], v[12:13]
	v_fma_f64 v[58:59], v[160:161], v[14:15], -v[8:9]
	v_mul_f64 v[8:9], v[166:167], v[20:21]
	v_fma_f64 v[62:63], v[164:165], v[22:23], -v[8:9]
	s_waitcnt lgkmcnt(2)
	v_mul_f64 v[8:9], v[170:171], v[36:37]
	v_mul_f64 v[52:53], v[158:159], v[18:19]
	v_fma_f64 v[66:67], v[168:169], v[38:39], -v[8:9]
	s_waitcnt lgkmcnt(0)
	v_mul_f64 v[8:9], v[90:91], v[44:45]
	v_add_f64 v[10:11], v[48:49], v[26:27]
	v_fmac_f64_e32 v[52:53], v[156:157], v[16:17]
	v_mul_f64 v[56:57], v[162:163], v[14:15]
	v_mul_f64 v[68:69], v[90:91], v[46:47]
	v_fma_f64 v[46:47], v[88:89], v[46:47], -v[8:9]
	v_add_f64 v[8:9], v[40:41], v[48:49]
	v_fmac_f64_e32 v[40:41], -0.5, v[10:11]
	v_add_f64 v[10:11], v[24:25], -v[32:33]
	v_add_f64 v[14:15], v[24:25], v[32:33]
	v_fmac_f64_e32 v[56:57], v[160:161], v[12:13]
	v_mul_f64 v[60:61], v[166:167], v[22:23]
	v_fma_f64 v[12:13], s[0:1], v[10:11], v[40:41]
	v_fmac_f64_e32 v[40:41], s[10:11], v[10:11]
	v_add_f64 v[10:11], v[42:43], v[24:25]
	v_fmac_f64_e32 v[42:43], -0.5, v[14:15]
	v_add_f64 v[16:17], v[48:49], -v[26:27]
	v_add_f64 v[18:19], v[34:35], v[52:53]
	v_fmac_f64_e32 v[60:61], v[164:165], v[20:21]
	v_fma_f64 v[14:15], s[10:11], v[16:17], v[42:43]
	v_fmac_f64_e32 v[42:43], s[0:1], v[16:17]
	v_add_f64 v[16:17], v[0:1], v[34:35]
	v_fmac_f64_e32 v[0:1], -0.5, v[18:19]
	v_add_f64 v[18:19], v[50:51], -v[54:55]
	v_add_f64 v[22:23], v[50:51], v[54:55]
	v_mul_f64 v[64:65], v[170:171], v[38:39]
	v_add_f64 v[8:9], v[8:9], v[26:27]
	v_fma_f64 v[20:21], s[0:1], v[18:19], v[0:1]
	v_fmac_f64_e32 v[0:1], s[10:11], v[18:19]
	v_add_f64 v[18:19], v[2:3], v[50:51]
	v_fmac_f64_e32 v[2:3], -0.5, v[22:23]
	v_add_f64 v[24:25], v[34:35], -v[52:53]
	v_add_f64 v[26:27], v[56:57], v[60:61]
	v_fmac_f64_e32 v[64:65], v[168:169], v[36:37]
	v_fmac_f64_e32 v[68:69], v[88:89], v[44:45]
	v_fma_f64 v[22:23], s[10:11], v[24:25], v[2:3]
	v_fmac_f64_e32 v[2:3], s[0:1], v[24:25]
	v_add_f64 v[24:25], v[4:5], v[56:57]
	v_fmac_f64_e32 v[4:5], -0.5, v[26:27]
	v_add_f64 v[26:27], v[58:59], -v[62:63]
	v_add_f64 v[34:35], v[58:59], v[62:63]
	v_add_f64 v[10:11], v[10:11], v[32:33]
	v_fma_f64 v[32:33], s[0:1], v[26:27], v[4:5]
	v_fmac_f64_e32 v[4:5], s[10:11], v[26:27]
	v_add_f64 v[26:27], v[6:7], v[58:59]
	v_fmac_f64_e32 v[6:7], -0.5, v[34:35]
	v_add_f64 v[36:37], v[56:57], -v[60:61]
	v_add_f64 v[38:39], v[64:65], v[68:69]
	v_fma_f64 v[34:35], s[10:11], v[36:37], v[6:7]
	v_fmac_f64_e32 v[6:7], s[0:1], v[36:37]
	v_add_f64 v[36:37], v[28:29], v[64:65]
	v_fmac_f64_e32 v[28:29], -0.5, v[38:39]
	v_add_f64 v[38:39], v[66:67], -v[46:47]
	v_fma_f64 v[44:45], s[0:1], v[38:39], v[28:29]
	v_fmac_f64_e32 v[28:29], s[10:11], v[38:39]
	v_add_f64 v[38:39], v[30:31], v[66:67]
	v_add_f64 v[38:39], v[38:39], v[46:47]
	;; [unrolled: 1-line block ×3, first 2 shown]
	v_fmac_f64_e32 v[30:31], -0.5, v[46:47]
	v_add_f64 v[48:49], v[64:65], -v[68:69]
	v_add_f64 v[16:17], v[16:17], v[52:53]
	v_add_f64 v[18:19], v[18:19], v[54:55]
	;; [unrolled: 1-line block ×5, first 2 shown]
	v_fma_f64 v[46:47], s[10:11], v[48:49], v[30:31]
	v_fmac_f64_e32 v[30:31], s[0:1], v[48:49]
	ds_write_b128 v229, v[8:11]
	ds_write_b128 v229, v[12:15] offset:20736
	ds_write_b128 v229, v[40:43] offset:41472
	;; [unrolled: 1-line block ×11, first 2 shown]
	s_waitcnt lgkmcnt(0)
	s_barrier
	s_and_b64 exec, exec, s[2:3]
	s_cbranch_execz .LBB0_15
; %bb.14:
	global_load_dwordx4 v[0:3], v224, s[12:13]
	global_load_dwordx4 v[4:7], v224, s[12:13] offset:3888
	v_mov_b32_e32 v225, 0
	s_movk_i32 s0, 0x1000
	v_lshl_add_u64 v[24:25], s[12:13], 0, v[224:225]
	v_add_co_u32_e32 v8, vcc, s0, v24
	v_mad_u64_u32 v[30:31], s[2:3], s4, v226, 0
	s_nop 0
	v_addc_co_u32_e32 v9, vcc, 0, v25, vcc
	global_load_dwordx4 v[8:11], v[8:9], off offset:3680
	s_movk_i32 s3, 0x2000
	v_add_co_u32_e32 v12, vcc, s3, v24
	v_mad_u64_u32 v[28:29], s[0:1], s6, v246, 0
	s_nop 0
	v_addc_co_u32_e32 v13, vcc, 0, v25, vcc
	global_load_dwordx4 v[12:15], v[12:13], off offset:3472
	s_movk_i32 s3, 0x3000
	v_mov_b32_e32 v42, v29
	v_mad_u64_u32 v[46:47], s[10:11], s7, v246, v[42:43]
	v_add_co_u32_e32 v42, vcc, s3, v24
	s_movk_i32 s6, 0x4000
	v_mov_b32_e32 v44, v31
	v_addc_co_u32_e32 v43, vcc, 0, v25, vcc
	ds_read_b128 v[20:23], v224 offset:3888
	ds_read_b128 v[16:19], v224 offset:7776
	ds_read_b128 v[34:37], v229
	ds_read_b128 v[38:41], v229 offset:46656
	v_mad_u64_u32 v[48:49], s[10:11], s5, v226, v[44:45]
	v_add_co_u32_e32 v58, vcc, s6, v24
	global_load_dwordx4 v[42:45], v[42:43], off offset:3264
	v_mov_b32_e32 v26, s8
	s_movk_i32 s8, 0x5000
	v_addc_co_u32_e32 v59, vcc, 0, v25, vcc
	v_add_co_u32_e32 v60, vcc, s8, v24
	v_mov_b32_e32 v27, s9
	s_movk_i32 s9, 0x6000
	v_addc_co_u32_e32 v61, vcc, 0, v25, vcc
	v_add_co_u32_e32 v62, vcc, s9, v24
	v_mov_b32_e32 v29, v46
	s_nop 0
	v_addc_co_u32_e32 v63, vcc, 0, v25, vcc
	v_mov_b32_e32 v31, v48
	global_load_dwordx4 v[46:49], v[58:59], off offset:3056
	global_load_dwordx4 v[50:53], v[60:61], off offset:2848
	global_load_dwordx4 v[54:57], v[62:63], off offset:2640
	v_lshl_add_u64 v[26:27], v[28:29], 4, v[26:27]
	s_mov_b32 s0, 0xa88f4696
	v_lshl_add_u64 v[26:27], v[30:31], 4, v[26:27]
	s_mov_b32 s1, 0x3f30db20
	v_mov_b32_e32 v32, 0xf30
	s_mul_i32 s2, s5, 0xf30
	v_mad_u64_u32 v[28:29], s[6:7], s4, v32, v[26:27]
	s_movk_i32 s3, 0x7000
	v_add_u32_e32 v29, s2, v29
	s_waitcnt vmcnt(7) lgkmcnt(1)
	v_mul_f64 v[30:31], v[36:37], v[2:3]
	v_mul_f64 v[2:3], v[34:35], v[2:3]
	s_waitcnt vmcnt(6)
	v_mul_f64 v[58:59], v[22:23], v[6:7]
	v_mul_f64 v[6:7], v[20:21], v[6:7]
	v_fmac_f64_e32 v[30:31], v[34:35], v[0:1]
	v_fma_f64 v[2:3], v[0:1], v[36:37], -v[2:3]
	v_fmac_f64_e32 v[58:59], v[20:21], v[4:5]
	v_fma_f64 v[6:7], v[4:5], v[22:23], -v[6:7]
	v_mul_f64 v[0:1], v[30:31], s[0:1]
	v_mul_f64 v[2:3], v[2:3], s[0:1]
	;; [unrolled: 1-line block ×4, first 2 shown]
	global_store_dwordx4 v[26:27], v[0:3], off
	global_store_dwordx4 v[28:29], v[4:7], off
	v_mad_u64_u32 v[30:31], s[6:7], s4, v32, v[28:29]
	s_nop 0
	v_add_co_u32_e32 v4, vcc, s3, v24
	s_waitcnt vmcnt(7)
	v_mul_f64 v[0:1], v[18:19], v[10:11]
	v_addc_co_u32_e32 v5, vcc, 0, v25, vcc
	global_load_dwordx4 v[4:7], v[4:5], off offset:2432
	v_mul_f64 v[2:3], v[16:17], v[10:11]
	s_mov_b32 s3, 0x8000
	v_fmac_f64_e32 v[0:1], v[16:17], v[8:9]
	v_fma_f64 v[2:3], v[8:9], v[18:19], -v[2:3]
	v_add_co_u32_e32 v8, vcc, s3, v24
	s_mov_b32 s3, 0x9000
	s_nop 0
	v_addc_co_u32_e32 v9, vcc, 0, v25, vcc
	global_load_dwordx4 v[8:11], v[8:9], off offset:2224
	v_mul_f64 v[0:1], v[0:1], s[0:1]
	v_mul_f64 v[2:3], v[2:3], s[0:1]
	v_add_u32_e32 v31, s2, v31
	v_add_co_u32_e32 v22, vcc, s3, v24
	global_store_dwordx4 v[30:31], v[0:3], off
	ds_read_b128 v[0:3], v224 offset:11664
	ds_read_b128 v[16:19], v224 offset:19440
	v_addc_co_u32_e32 v23, vcc, 0, v25, vcc
	global_load_dwordx4 v[26:29], v[22:23], off offset:2016
	s_waitcnt vmcnt(10) lgkmcnt(1)
	v_mul_f64 v[20:21], v[2:3], v[14:15]
	v_fmac_f64_e32 v[20:21], v[0:1], v[12:13]
	v_mul_f64 v[0:1], v[0:1], v[14:15]
	s_mov_b32 s3, 0xa000
	v_fma_f64 v[0:1], v[12:13], v[2:3], -v[0:1]
	v_add_co_u32_e32 v12, vcc, s3, v24
	v_mad_u64_u32 v[30:31], s[6:7], s4, v32, v[30:31]
	s_nop 0
	v_addc_co_u32_e32 v13, vcc, 0, v25, vcc
	global_load_dwordx4 v[12:15], v[12:13], off offset:1808
	v_mul_f64 v[22:23], v[0:1], s[0:1]
	ds_read_b128 v[0:3], v229 offset:15552
	v_mul_f64 v[20:21], v[20:21], s[0:1]
	v_add_u32_e32 v31, s2, v31
	global_store_dwordx4 v[30:31], v[20:23], off
	ds_read_b128 v[20:23], v229 offset:31104
	s_waitcnt vmcnt(11) lgkmcnt(1)
	v_mul_f64 v[34:35], v[2:3], v[44:45]
	v_fmac_f64_e32 v[34:35], v[0:1], v[42:43]
	v_mul_f64 v[0:1], v[0:1], v[44:45]
	v_fma_f64 v[0:1], v[42:43], v[2:3], -v[0:1]
	v_mul_f64 v[36:37], v[0:1], s[0:1]
	v_mad_u64_u32 v[30:31], s[6:7], s4, v32, v[30:31]
	s_waitcnt vmcnt(10)
	v_mul_f64 v[0:1], v[18:19], v[48:49]
	v_mul_f64 v[2:3], v[16:17], v[48:49]
	v_mul_f64 v[34:35], v[34:35], s[0:1]
	v_add_u32_e32 v31, s2, v31
	v_fmac_f64_e32 v[0:1], v[16:17], v[46:47]
	v_fma_f64 v[2:3], v[46:47], v[18:19], -v[2:3]
	ds_read_b128 v[16:19], v224 offset:23328
	global_store_dwordx4 v[30:31], v[34:37], off
	v_mad_u64_u32 v[30:31], s[6:7], s4, v32, v[30:31]
	v_mul_f64 v[0:1], v[0:1], s[0:1]
	v_mul_f64 v[2:3], v[2:3], s[0:1]
	v_add_u32_e32 v31, s2, v31
	global_store_dwordx4 v[30:31], v[0:3], off
	ds_read_b128 v[0:3], v224 offset:27216
	s_waitcnt vmcnt(11) lgkmcnt(1)
	v_mul_f64 v[34:35], v[18:19], v[52:53]
	v_fmac_f64_e32 v[34:35], v[16:17], v[50:51]
	v_mul_f64 v[16:17], v[16:17], v[52:53]
	v_fma_f64 v[16:17], v[50:51], v[18:19], -v[16:17]
	v_mul_f64 v[36:37], v[16:17], s[0:1]
	s_waitcnt vmcnt(10) lgkmcnt(0)
	v_mul_f64 v[16:17], v[2:3], v[56:57]
	v_mad_u64_u32 v[30:31], s[6:7], s4, v32, v[30:31]
	v_fmac_f64_e32 v[16:17], v[0:1], v[54:55]
	v_mul_f64 v[0:1], v[0:1], v[56:57]
	v_mul_f64 v[34:35], v[34:35], s[0:1]
	v_add_u32_e32 v31, s2, v31
	v_fma_f64 v[0:1], v[54:55], v[2:3], -v[0:1]
	global_store_dwordx4 v[30:31], v[34:37], off
	v_mul_f64 v[18:19], v[0:1], s[0:1]
	v_mad_u64_u32 v[30:31], s[6:7], s4, v32, v[30:31]
	v_add_u32_e32 v31, s2, v31
	s_waitcnt vmcnt(8)
	v_mul_f64 v[0:1], v[22:23], v[6:7]
	v_mul_f64 v[2:3], v[20:21], v[6:7]
	v_fmac_f64_e32 v[0:1], v[20:21], v[4:5]
	v_fma_f64 v[2:3], v[4:5], v[22:23], -v[2:3]
	ds_read_b128 v[4:7], v224 offset:34992
	v_mad_u64_u32 v[20:21], s[6:7], s4, v32, v[30:31]
	v_mul_f64 v[16:17], v[16:17], s[0:1]
	v_mul_f64 v[0:1], v[0:1], s[0:1]
	;; [unrolled: 1-line block ×3, first 2 shown]
	v_add_u32_e32 v21, s2, v21
	global_store_dwordx4 v[30:31], v[16:19], off
	global_store_dwordx4 v[20:21], v[0:3], off
	ds_read_b128 v[0:3], v224 offset:38880
	s_waitcnt vmcnt(9) lgkmcnt(1)
	v_mul_f64 v[16:17], v[6:7], v[10:11]
	v_fmac_f64_e32 v[16:17], v[4:5], v[8:9]
	v_mul_f64 v[4:5], v[4:5], v[10:11]
	v_fma_f64 v[4:5], v[8:9], v[6:7], -v[4:5]
	v_mul_f64 v[18:19], v[4:5], s[0:1]
	v_mad_u64_u32 v[8:9], s[6:7], s4, v32, v[20:21]
	s_waitcnt vmcnt(7) lgkmcnt(0)
	v_mul_f64 v[4:5], v[2:3], v[28:29]
	v_fmac_f64_e32 v[4:5], v[0:1], v[26:27]
	v_mul_f64 v[0:1], v[0:1], v[28:29]
	v_fma_f64 v[0:1], v[26:27], v[2:3], -v[0:1]
	v_mul_f64 v[6:7], v[0:1], s[0:1]
	ds_read_b128 v[0:3], v224 offset:42768
	v_mul_f64 v[16:17], v[16:17], s[0:1]
	v_add_u32_e32 v9, s2, v9
	global_store_dwordx4 v[8:9], v[16:19], off
	v_mul_f64 v[4:5], v[4:5], s[0:1]
	s_mov_b32 s3, 0xb000
	v_mad_u64_u32 v[16:17], s[6:7], s4, v32, v[8:9]
	v_add_u32_e32 v17, s2, v17
	global_store_dwordx4 v[16:17], v[4:7], off
	ds_read_b128 v[4:7], v224 offset:50544
	s_waitcnt vmcnt(8) lgkmcnt(1)
	v_mul_f64 v[8:9], v[2:3], v[14:15]
	v_fmac_f64_e32 v[8:9], v[0:1], v[12:13]
	v_mul_f64 v[0:1], v[0:1], v[14:15]
	v_fma_f64 v[0:1], v[12:13], v[2:3], -v[0:1]
	v_mad_u64_u32 v[12:13], s[6:7], s4, v32, v[16:17]
	v_mul_f64 v[8:9], v[8:9], s[0:1]
	v_mul_f64 v[10:11], v[0:1], s[0:1]
	v_add_u32_e32 v13, s2, v13
	v_add_co_u32_e32 v0, vcc, s3, v24
	global_store_dwordx4 v[12:13], v[8:11], off
	s_nop 0
	v_addc_co_u32_e32 v1, vcc, 0, v25, vcc
	global_load_dwordx4 v[0:3], v[0:1], off offset:1600
	v_mad_u64_u32 v[12:13], s[6:7], s4, v32, v[12:13]
	s_mov_b32 s3, 0xc000
	v_add_u32_e32 v13, s2, v13
	s_waitcnt vmcnt(0)
	v_mul_f64 v[8:9], v[40:41], v[2:3]
	v_mul_f64 v[2:3], v[38:39], v[2:3]
	v_fmac_f64_e32 v[8:9], v[38:39], v[0:1]
	v_fma_f64 v[0:1], v[0:1], v[40:41], -v[2:3]
	v_mul_f64 v[8:9], v[8:9], s[0:1]
	v_mul_f64 v[10:11], v[0:1], s[0:1]
	v_add_co_u32_e32 v0, vcc, s3, v24
	global_store_dwordx4 v[12:13], v[8:11], off
	s_nop 0
	v_addc_co_u32_e32 v1, vcc, 0, v25, vcc
	global_load_dwordx4 v[0:3], v[0:1], off offset:1392
	s_mov_b32 s3, 0xd000
	v_mad_u64_u32 v[12:13], s[6:7], s4, v32, v[12:13]
	v_add_co_u32_e32 v8, vcc, s3, v24
	v_add_u32_e32 v13, s2, v13
	s_nop 0
	v_addc_co_u32_e32 v9, vcc, 0, v25, vcc
	s_mov_b32 s3, 0xe000
	v_add_co_u32_e32 v14, vcc, s3, v24
	s_waitcnt vmcnt(0) lgkmcnt(0)
	v_mul_f64 v[10:11], v[6:7], v[2:3]
	v_mul_f64 v[2:3], v[4:5], v[2:3]
	v_fmac_f64_e32 v[10:11], v[4:5], v[0:1]
	v_fma_f64 v[2:3], v[0:1], v[6:7], -v[2:3]
	v_mul_f64 v[0:1], v[10:11], s[0:1]
	v_mul_f64 v[2:3], v[2:3], s[0:1]
	global_store_dwordx4 v[12:13], v[0:3], off
	global_load_dwordx4 v[0:3], v[8:9], off offset:1184
	ds_read_b128 v[4:7], v224 offset:54432
	ds_read_b128 v[8:11], v224 offset:58320
	v_mad_u64_u32 v[12:13], s[6:7], s4, v32, v[12:13]
	v_add_u32_e32 v13, s2, v13
	v_addc_co_u32_e32 v15, vcc, 0, v25, vcc
	s_waitcnt vmcnt(0) lgkmcnt(1)
	v_mul_f64 v[16:17], v[6:7], v[2:3]
	v_mul_f64 v[2:3], v[4:5], v[2:3]
	v_fmac_f64_e32 v[16:17], v[4:5], v[0:1]
	v_fma_f64 v[2:3], v[0:1], v[6:7], -v[2:3]
	v_mul_f64 v[0:1], v[16:17], s[0:1]
	v_mul_f64 v[2:3], v[2:3], s[0:1]
	global_store_dwordx4 v[12:13], v[0:3], off
	global_load_dwordx4 v[0:3], v[14:15], off offset:976
	v_mad_u64_u32 v[4:5], s[4:5], s4, v32, v[12:13]
	v_add_u32_e32 v5, s2, v5
	s_waitcnt vmcnt(0) lgkmcnt(0)
	v_mul_f64 v[6:7], v[10:11], v[2:3]
	v_mul_f64 v[2:3], v[8:9], v[2:3]
	v_fmac_f64_e32 v[6:7], v[8:9], v[0:1]
	v_fma_f64 v[2:3], v[0:1], v[10:11], -v[2:3]
	v_mul_f64 v[0:1], v[6:7], s[0:1]
	v_mul_f64 v[2:3], v[2:3], s[0:1]
	global_store_dwordx4 v[4:5], v[0:3], off
.LBB0_15:
	s_endpgm
	.section	.rodata,"a",@progbits
	.p2align	6, 0x0
	.amdhsa_kernel bluestein_single_back_len3888_dim1_dp_op_CI_CI
		.amdhsa_group_segment_fixed_size 62208
		.amdhsa_private_segment_fixed_size 180
		.amdhsa_kernarg_size 104
		.amdhsa_user_sgpr_count 2
		.amdhsa_user_sgpr_dispatch_ptr 0
		.amdhsa_user_sgpr_queue_ptr 0
		.amdhsa_user_sgpr_kernarg_segment_ptr 1
		.amdhsa_user_sgpr_dispatch_id 0
		.amdhsa_user_sgpr_kernarg_preload_length 0
		.amdhsa_user_sgpr_kernarg_preload_offset 0
		.amdhsa_user_sgpr_private_segment_size 0
		.amdhsa_uses_dynamic_stack 0
		.amdhsa_enable_private_segment 1
		.amdhsa_system_sgpr_workgroup_id_x 1
		.amdhsa_system_sgpr_workgroup_id_y 0
		.amdhsa_system_sgpr_workgroup_id_z 0
		.amdhsa_system_sgpr_workgroup_info 0
		.amdhsa_system_vgpr_workitem_id 0
		.amdhsa_next_free_vgpr 256
		.amdhsa_next_free_sgpr 24
		.amdhsa_accum_offset 256
		.amdhsa_reserve_vcc 1
		.amdhsa_float_round_mode_32 0
		.amdhsa_float_round_mode_16_64 0
		.amdhsa_float_denorm_mode_32 3
		.amdhsa_float_denorm_mode_16_64 3
		.amdhsa_dx10_clamp 1
		.amdhsa_ieee_mode 1
		.amdhsa_fp16_overflow 0
		.amdhsa_tg_split 0
		.amdhsa_exception_fp_ieee_invalid_op 0
		.amdhsa_exception_fp_denorm_src 0
		.amdhsa_exception_fp_ieee_div_zero 0
		.amdhsa_exception_fp_ieee_overflow 0
		.amdhsa_exception_fp_ieee_underflow 0
		.amdhsa_exception_fp_ieee_inexact 0
		.amdhsa_exception_int_div_zero 0
	.end_amdhsa_kernel
	.text
.Lfunc_end0:
	.size	bluestein_single_back_len3888_dim1_dp_op_CI_CI, .Lfunc_end0-bluestein_single_back_len3888_dim1_dp_op_CI_CI
                                        ; -- End function
	.section	.AMDGPU.csdata,"",@progbits
; Kernel info:
; codeLenInByte = 17968
; NumSgprs: 30
; NumVgprs: 256
; NumAgprs: 0
; TotalNumVgprs: 256
; ScratchSize: 180
; MemoryBound: 0
; FloatMode: 240
; IeeeMode: 1
; LDSByteSize: 62208 bytes/workgroup (compile time only)
; SGPRBlocks: 3
; VGPRBlocks: 31
; NumSGPRsForWavesPerEU: 30
; NumVGPRsForWavesPerEU: 256
; AccumOffset: 256
; Occupancy: 2
; WaveLimiterHint : 1
; COMPUTE_PGM_RSRC2:SCRATCH_EN: 1
; COMPUTE_PGM_RSRC2:USER_SGPR: 2
; COMPUTE_PGM_RSRC2:TRAP_HANDLER: 0
; COMPUTE_PGM_RSRC2:TGID_X_EN: 1
; COMPUTE_PGM_RSRC2:TGID_Y_EN: 0
; COMPUTE_PGM_RSRC2:TGID_Z_EN: 0
; COMPUTE_PGM_RSRC2:TIDIG_COMP_CNT: 0
; COMPUTE_PGM_RSRC3_GFX90A:ACCUM_OFFSET: 63
; COMPUTE_PGM_RSRC3_GFX90A:TG_SPLIT: 0
	.text
	.p2alignl 6, 3212836864
	.fill 256, 4, 3212836864
	.type	__hip_cuid_49cf60c56e2b4053,@object ; @__hip_cuid_49cf60c56e2b4053
	.section	.bss,"aw",@nobits
	.globl	__hip_cuid_49cf60c56e2b4053
__hip_cuid_49cf60c56e2b4053:
	.byte	0                               ; 0x0
	.size	__hip_cuid_49cf60c56e2b4053, 1

	.ident	"AMD clang version 19.0.0git (https://github.com/RadeonOpenCompute/llvm-project roc-6.4.0 25133 c7fe45cf4b819c5991fe208aaa96edf142730f1d)"
	.section	".note.GNU-stack","",@progbits
	.addrsig
	.addrsig_sym __hip_cuid_49cf60c56e2b4053
	.amdgpu_metadata
---
amdhsa.kernels:
  - .agpr_count:     0
    .args:
      - .actual_access:  read_only
        .address_space:  global
        .offset:         0
        .size:           8
        .value_kind:     global_buffer
      - .actual_access:  read_only
        .address_space:  global
        .offset:         8
        .size:           8
        .value_kind:     global_buffer
      - .actual_access:  read_only
        .address_space:  global
        .offset:         16
        .size:           8
        .value_kind:     global_buffer
      - .actual_access:  read_only
        .address_space:  global
        .offset:         24
        .size:           8
        .value_kind:     global_buffer
      - .actual_access:  read_only
        .address_space:  global
        .offset:         32
        .size:           8
        .value_kind:     global_buffer
      - .offset:         40
        .size:           8
        .value_kind:     by_value
      - .address_space:  global
        .offset:         48
        .size:           8
        .value_kind:     global_buffer
      - .address_space:  global
        .offset:         56
        .size:           8
        .value_kind:     global_buffer
      - .address_space:  global
        .offset:         64
        .size:           8
        .value_kind:     global_buffer
      - .address_space:  global
        .offset:         72
        .size:           8
        .value_kind:     global_buffer
      - .offset:         80
        .size:           4
        .value_kind:     by_value
      - .address_space:  global
        .offset:         88
        .size:           8
        .value_kind:     global_buffer
      - .address_space:  global
        .offset:         96
        .size:           8
        .value_kind:     global_buffer
    .group_segment_fixed_size: 62208
    .kernarg_segment_align: 8
    .kernarg_segment_size: 104
    .language:       OpenCL C
    .language_version:
      - 2
      - 0
    .max_flat_workgroup_size: 324
    .name:           bluestein_single_back_len3888_dim1_dp_op_CI_CI
    .private_segment_fixed_size: 180
    .sgpr_count:     30
    .sgpr_spill_count: 0
    .symbol:         bluestein_single_back_len3888_dim1_dp_op_CI_CI.kd
    .uniform_work_group_size: 1
    .uses_dynamic_stack: false
    .vgpr_count:     256
    .vgpr_spill_count: 44
    .wavefront_size: 64
amdhsa.target:   amdgcn-amd-amdhsa--gfx950
amdhsa.version:
  - 1
  - 2
...

	.end_amdgpu_metadata
